;; amdgpu-corpus repo=ROCm/rocFFT kind=compiled arch=gfx1201 opt=O3
	.text
	.amdgcn_target "amdgcn-amd-amdhsa--gfx1201"
	.amdhsa_code_object_version 6
	.protected	fft_rtc_back_len1512_factors_2_2_2_3_3_3_7_wgs_63_tpt_63_halfLds_dp_ip_CI_unitstride_sbrr_R2C_dirReg ; -- Begin function fft_rtc_back_len1512_factors_2_2_2_3_3_3_7_wgs_63_tpt_63_halfLds_dp_ip_CI_unitstride_sbrr_R2C_dirReg
	.globl	fft_rtc_back_len1512_factors_2_2_2_3_3_3_7_wgs_63_tpt_63_halfLds_dp_ip_CI_unitstride_sbrr_R2C_dirReg
	.p2align	8
	.type	fft_rtc_back_len1512_factors_2_2_2_3_3_3_7_wgs_63_tpt_63_halfLds_dp_ip_CI_unitstride_sbrr_R2C_dirReg,@function
fft_rtc_back_len1512_factors_2_2_2_3_3_3_7_wgs_63_tpt_63_halfLds_dp_ip_CI_unitstride_sbrr_R2C_dirReg: ; @fft_rtc_back_len1512_factors_2_2_2_3_3_3_7_wgs_63_tpt_63_halfLds_dp_ip_CI_unitstride_sbrr_R2C_dirReg
; %bb.0:
	s_clause 0x2
	s_load_b128 s[4:7], s[0:1], 0x0
	s_load_b64 s[8:9], s[0:1], 0x50
	s_load_b64 s[10:11], s[0:1], 0x18
	v_mul_u32_u24_e32 v1, 0x411, v0
	v_mov_b32_e32 v3, 0
	s_delay_alu instid0(VALU_DEP_2) | instskip(NEXT) | instid1(VALU_DEP_1)
	v_lshrrev_b32_e32 v1, 16, v1
	v_add_nc_u32_e32 v5, ttmp9, v1
	v_mov_b32_e32 v1, 0
	v_mov_b32_e32 v2, 0
	;; [unrolled: 1-line block ×3, first 2 shown]
	s_wait_kmcnt 0x0
	v_cmp_lt_u64_e64 s2, s[6:7], 2
	s_delay_alu instid0(VALU_DEP_1)
	s_and_b32 vcc_lo, exec_lo, s2
	s_cbranch_vccnz .LBB0_8
; %bb.1:
	s_load_b64 s[2:3], s[0:1], 0x10
	v_mov_b32_e32 v1, 0
	v_mov_b32_e32 v2, 0
	s_add_nc_u64 s[12:13], s[10:11], 8
	s_mov_b64 s[14:15], 1
	s_wait_kmcnt 0x0
	s_add_nc_u64 s[16:17], s[2:3], 8
	s_mov_b32 s3, 0
.LBB0_2:                                ; =>This Inner Loop Header: Depth=1
	s_load_b64 s[18:19], s[16:17], 0x0
                                        ; implicit-def: $vgpr7_vgpr8
	s_mov_b32 s2, exec_lo
	s_wait_kmcnt 0x0
	v_or_b32_e32 v4, s19, v6
	s_delay_alu instid0(VALU_DEP_1)
	v_cmpx_ne_u64_e32 0, v[3:4]
	s_wait_alu 0xfffe
	s_xor_b32 s20, exec_lo, s2
	s_cbranch_execz .LBB0_4
; %bb.3:                                ;   in Loop: Header=BB0_2 Depth=1
	s_cvt_f32_u32 s2, s18
	s_cvt_f32_u32 s21, s19
	s_sub_nc_u64 s[24:25], 0, s[18:19]
	s_wait_alu 0xfffe
	s_delay_alu instid0(SALU_CYCLE_1) | instskip(SKIP_1) | instid1(SALU_CYCLE_2)
	s_fmamk_f32 s2, s21, 0x4f800000, s2
	s_wait_alu 0xfffe
	v_s_rcp_f32 s2, s2
	s_delay_alu instid0(TRANS32_DEP_1) | instskip(SKIP_1) | instid1(SALU_CYCLE_2)
	s_mul_f32 s2, s2, 0x5f7ffffc
	s_wait_alu 0xfffe
	s_mul_f32 s21, s2, 0x2f800000
	s_wait_alu 0xfffe
	s_delay_alu instid0(SALU_CYCLE_2) | instskip(SKIP_1) | instid1(SALU_CYCLE_2)
	s_trunc_f32 s21, s21
	s_wait_alu 0xfffe
	s_fmamk_f32 s2, s21, 0xcf800000, s2
	s_cvt_u32_f32 s23, s21
	s_wait_alu 0xfffe
	s_delay_alu instid0(SALU_CYCLE_1) | instskip(SKIP_1) | instid1(SALU_CYCLE_2)
	s_cvt_u32_f32 s22, s2
	s_wait_alu 0xfffe
	s_mul_u64 s[26:27], s[24:25], s[22:23]
	s_wait_alu 0xfffe
	s_mul_hi_u32 s29, s22, s27
	s_mul_i32 s28, s22, s27
	s_mul_hi_u32 s2, s22, s26
	s_mul_i32 s30, s23, s26
	s_wait_alu 0xfffe
	s_add_nc_u64 s[28:29], s[2:3], s[28:29]
	s_mul_hi_u32 s21, s23, s26
	s_mul_hi_u32 s31, s23, s27
	s_add_co_u32 s2, s28, s30
	s_wait_alu 0xfffe
	s_add_co_ci_u32 s2, s29, s21
	s_mul_i32 s26, s23, s27
	s_add_co_ci_u32 s27, s31, 0
	s_wait_alu 0xfffe
	s_add_nc_u64 s[26:27], s[2:3], s[26:27]
	s_wait_alu 0xfffe
	v_add_co_u32 v4, s2, s22, s26
	s_delay_alu instid0(VALU_DEP_1) | instskip(SKIP_1) | instid1(VALU_DEP_1)
	s_cmp_lg_u32 s2, 0
	s_add_co_ci_u32 s23, s23, s27
	v_readfirstlane_b32 s22, v4
	s_wait_alu 0xfffe
	s_delay_alu instid0(VALU_DEP_1)
	s_mul_u64 s[24:25], s[24:25], s[22:23]
	s_wait_alu 0xfffe
	s_mul_hi_u32 s27, s22, s25
	s_mul_i32 s26, s22, s25
	s_mul_hi_u32 s2, s22, s24
	s_mul_i32 s28, s23, s24
	s_wait_alu 0xfffe
	s_add_nc_u64 s[26:27], s[2:3], s[26:27]
	s_mul_hi_u32 s21, s23, s24
	s_mul_hi_u32 s22, s23, s25
	s_wait_alu 0xfffe
	s_add_co_u32 s2, s26, s28
	s_add_co_ci_u32 s2, s27, s21
	s_mul_i32 s24, s23, s25
	s_add_co_ci_u32 s25, s22, 0
	s_wait_alu 0xfffe
	s_add_nc_u64 s[24:25], s[2:3], s[24:25]
	s_wait_alu 0xfffe
	v_add_co_u32 v4, s2, v4, s24
	s_delay_alu instid0(VALU_DEP_1) | instskip(SKIP_1) | instid1(VALU_DEP_1)
	s_cmp_lg_u32 s2, 0
	s_add_co_ci_u32 s2, s23, s25
	v_mul_hi_u32 v13, v5, v4
	s_wait_alu 0xfffe
	v_mad_co_u64_u32 v[7:8], null, v5, s2, 0
	v_mad_co_u64_u32 v[9:10], null, v6, v4, 0
	;; [unrolled: 1-line block ×3, first 2 shown]
	s_delay_alu instid0(VALU_DEP_3) | instskip(SKIP_1) | instid1(VALU_DEP_4)
	v_add_co_u32 v4, vcc_lo, v13, v7
	s_wait_alu 0xfffd
	v_add_co_ci_u32_e32 v7, vcc_lo, 0, v8, vcc_lo
	s_delay_alu instid0(VALU_DEP_2) | instskip(SKIP_1) | instid1(VALU_DEP_2)
	v_add_co_u32 v4, vcc_lo, v4, v9
	s_wait_alu 0xfffd
	v_add_co_ci_u32_e32 v4, vcc_lo, v7, v10, vcc_lo
	s_wait_alu 0xfffd
	v_add_co_ci_u32_e32 v7, vcc_lo, 0, v12, vcc_lo
	s_delay_alu instid0(VALU_DEP_2) | instskip(SKIP_1) | instid1(VALU_DEP_2)
	v_add_co_u32 v4, vcc_lo, v4, v11
	s_wait_alu 0xfffd
	v_add_co_ci_u32_e32 v9, vcc_lo, 0, v7, vcc_lo
	s_delay_alu instid0(VALU_DEP_2) | instskip(SKIP_1) | instid1(VALU_DEP_3)
	v_mul_lo_u32 v10, s19, v4
	v_mad_co_u64_u32 v[7:8], null, s18, v4, 0
	v_mul_lo_u32 v11, s18, v9
	s_delay_alu instid0(VALU_DEP_2) | instskip(NEXT) | instid1(VALU_DEP_2)
	v_sub_co_u32 v7, vcc_lo, v5, v7
	v_add3_u32 v8, v8, v11, v10
	s_delay_alu instid0(VALU_DEP_1) | instskip(SKIP_1) | instid1(VALU_DEP_1)
	v_sub_nc_u32_e32 v10, v6, v8
	s_wait_alu 0xfffd
	v_subrev_co_ci_u32_e64 v10, s2, s19, v10, vcc_lo
	v_add_co_u32 v11, s2, v4, 2
	s_wait_alu 0xf1ff
	v_add_co_ci_u32_e64 v12, s2, 0, v9, s2
	v_sub_co_u32 v13, s2, v7, s18
	v_sub_co_ci_u32_e32 v8, vcc_lo, v6, v8, vcc_lo
	s_wait_alu 0xf1ff
	v_subrev_co_ci_u32_e64 v10, s2, 0, v10, s2
	s_delay_alu instid0(VALU_DEP_3) | instskip(NEXT) | instid1(VALU_DEP_3)
	v_cmp_le_u32_e32 vcc_lo, s18, v13
	v_cmp_eq_u32_e64 s2, s19, v8
	s_wait_alu 0xfffd
	v_cndmask_b32_e64 v13, 0, -1, vcc_lo
	v_cmp_le_u32_e32 vcc_lo, s19, v10
	s_wait_alu 0xfffd
	v_cndmask_b32_e64 v14, 0, -1, vcc_lo
	v_cmp_le_u32_e32 vcc_lo, s18, v7
	;; [unrolled: 3-line block ×3, first 2 shown]
	s_wait_alu 0xfffd
	v_cndmask_b32_e64 v15, 0, -1, vcc_lo
	v_cmp_eq_u32_e32 vcc_lo, s19, v10
	s_wait_alu 0xf1ff
	s_delay_alu instid0(VALU_DEP_2)
	v_cndmask_b32_e64 v7, v15, v7, s2
	s_wait_alu 0xfffd
	v_cndmask_b32_e32 v10, v14, v13, vcc_lo
	v_add_co_u32 v13, vcc_lo, v4, 1
	s_wait_alu 0xfffd
	v_add_co_ci_u32_e32 v14, vcc_lo, 0, v9, vcc_lo
	s_delay_alu instid0(VALU_DEP_3) | instskip(SKIP_2) | instid1(VALU_DEP_3)
	v_cmp_ne_u32_e32 vcc_lo, 0, v10
	s_wait_alu 0xfffd
	v_cndmask_b32_e32 v10, v13, v11, vcc_lo
	v_cndmask_b32_e32 v8, v14, v12, vcc_lo
	v_cmp_ne_u32_e32 vcc_lo, 0, v7
	s_wait_alu 0xfffd
	s_delay_alu instid0(VALU_DEP_2)
	v_dual_cndmask_b32 v7, v4, v10 :: v_dual_cndmask_b32 v8, v9, v8
.LBB0_4:                                ;   in Loop: Header=BB0_2 Depth=1
	s_wait_alu 0xfffe
	s_and_not1_saveexec_b32 s2, s20
	s_cbranch_execz .LBB0_6
; %bb.5:                                ;   in Loop: Header=BB0_2 Depth=1
	v_cvt_f32_u32_e32 v4, s18
	s_sub_co_i32 s20, 0, s18
	s_delay_alu instid0(VALU_DEP_1) | instskip(NEXT) | instid1(TRANS32_DEP_1)
	v_rcp_iflag_f32_e32 v4, v4
	v_mul_f32_e32 v4, 0x4f7ffffe, v4
	s_delay_alu instid0(VALU_DEP_1) | instskip(SKIP_1) | instid1(VALU_DEP_1)
	v_cvt_u32_f32_e32 v4, v4
	s_wait_alu 0xfffe
	v_mul_lo_u32 v7, s20, v4
	s_delay_alu instid0(VALU_DEP_1) | instskip(NEXT) | instid1(VALU_DEP_1)
	v_mul_hi_u32 v7, v4, v7
	v_add_nc_u32_e32 v4, v4, v7
	s_delay_alu instid0(VALU_DEP_1) | instskip(NEXT) | instid1(VALU_DEP_1)
	v_mul_hi_u32 v4, v5, v4
	v_mul_lo_u32 v7, v4, s18
	v_add_nc_u32_e32 v8, 1, v4
	s_delay_alu instid0(VALU_DEP_2) | instskip(NEXT) | instid1(VALU_DEP_1)
	v_sub_nc_u32_e32 v7, v5, v7
	v_subrev_nc_u32_e32 v9, s18, v7
	v_cmp_le_u32_e32 vcc_lo, s18, v7
	s_wait_alu 0xfffd
	s_delay_alu instid0(VALU_DEP_2) | instskip(NEXT) | instid1(VALU_DEP_1)
	v_dual_cndmask_b32 v7, v7, v9 :: v_dual_cndmask_b32 v4, v4, v8
	v_cmp_le_u32_e32 vcc_lo, s18, v7
	s_delay_alu instid0(VALU_DEP_2) | instskip(SKIP_1) | instid1(VALU_DEP_1)
	v_add_nc_u32_e32 v8, 1, v4
	s_wait_alu 0xfffd
	v_dual_cndmask_b32 v7, v4, v8 :: v_dual_mov_b32 v8, v3
.LBB0_6:                                ;   in Loop: Header=BB0_2 Depth=1
	s_wait_alu 0xfffe
	s_or_b32 exec_lo, exec_lo, s2
	s_load_b64 s[20:21], s[12:13], 0x0
	s_delay_alu instid0(VALU_DEP_1)
	v_mul_lo_u32 v4, v8, s18
	v_mul_lo_u32 v11, v7, s19
	v_mad_co_u64_u32 v[9:10], null, v7, s18, 0
	s_add_nc_u64 s[14:15], s[14:15], 1
	s_add_nc_u64 s[12:13], s[12:13], 8
	s_wait_alu 0xfffe
	v_cmp_ge_u64_e64 s2, s[14:15], s[6:7]
	s_add_nc_u64 s[16:17], s[16:17], 8
	s_delay_alu instid0(VALU_DEP_2) | instskip(NEXT) | instid1(VALU_DEP_3)
	v_add3_u32 v4, v10, v11, v4
	v_sub_co_u32 v5, vcc_lo, v5, v9
	s_wait_alu 0xfffd
	s_delay_alu instid0(VALU_DEP_2) | instskip(SKIP_3) | instid1(VALU_DEP_2)
	v_sub_co_ci_u32_e32 v4, vcc_lo, v6, v4, vcc_lo
	s_and_b32 vcc_lo, exec_lo, s2
	s_wait_kmcnt 0x0
	v_mul_lo_u32 v6, s21, v5
	v_mul_lo_u32 v4, s20, v4
	v_mad_co_u64_u32 v[1:2], null, s20, v5, v[1:2]
	s_delay_alu instid0(VALU_DEP_1)
	v_add3_u32 v2, v6, v2, v4
	s_wait_alu 0xfffe
	s_cbranch_vccnz .LBB0_9
; %bb.7:                                ;   in Loop: Header=BB0_2 Depth=1
	v_dual_mov_b32 v5, v7 :: v_dual_mov_b32 v6, v8
	s_branch .LBB0_2
.LBB0_8:
	v_dual_mov_b32 v8, v6 :: v_dual_mov_b32 v7, v5
.LBB0_9:
	s_lshl_b64 s[2:3], s[6:7], 3
	v_mul_hi_u32 v3, 0x4104105, v0
	s_wait_alu 0xfffe
	s_add_nc_u64 s[2:3], s[10:11], s[2:3]
	s_load_b64 s[0:1], s[0:1], 0x20
	s_load_b64 s[2:3], s[2:3], 0x0
	s_delay_alu instid0(VALU_DEP_1) | instskip(NEXT) | instid1(VALU_DEP_1)
	v_mul_u32_u24_e32 v3, 63, v3
	v_sub_nc_u32_e32 v112, v0, v3
	s_delay_alu instid0(VALU_DEP_1)
	v_add_nc_u32_e32 v114, 63, v112
	v_add_nc_u32_e32 v127, 0x7e, v112
	;; [unrolled: 1-line block ×4, first 2 shown]
	s_wait_kmcnt 0x0
	v_cmp_gt_u64_e32 vcc_lo, s[0:1], v[7:8]
	v_mul_lo_u32 v3, s2, v8
	v_mul_lo_u32 v4, s3, v7
	v_mad_co_u64_u32 v[0:1], null, s2, v7, v[1:2]
	v_cmp_le_u64_e64 s0, s[0:1], v[7:8]
	v_add_nc_u32_e32 v124, 0x13b, v112
	v_add_nc_u32_e32 v123, 0x17a, v112
	;; [unrolled: 1-line block ×6, first 2 shown]
	v_add3_u32 v1, v4, v1, v3
	v_add_nc_u32_e32 v118, 0x2b5, v112
	s_and_saveexec_b32 s1, s0
	s_wait_alu 0xfffe
	s_xor_b32 s0, exec_lo, s1
; %bb.10:
	v_add_nc_u32_e32 v114, 63, v112
	v_add_nc_u32_e32 v127, 0x7e, v112
	;; [unrolled: 1-line block ×11, first 2 shown]
; %bb.11:
	s_wait_alu 0xfffe
	s_or_saveexec_b32 s1, s0
	v_lshlrev_b64_e32 v[116:117], 4, v[0:1]
	s_wait_alu 0xfffe
	s_xor_b32 exec_lo, exec_lo, s1
	s_cbranch_execz .LBB0_13
; %bb.12:
	v_mov_b32_e32 v113, 0
	s_delay_alu instid0(VALU_DEP_2) | instskip(SKIP_2) | instid1(VALU_DEP_3)
	v_add_co_u32 v2, s0, s8, v116
	s_wait_alu 0xf1ff
	v_add_co_ci_u32_e64 v3, s0, s9, v117, s0
	v_lshlrev_b64_e32 v[0:1], 4, v[112:113]
	v_lshl_add_u32 v96, v112, 4, 0
	s_delay_alu instid0(VALU_DEP_2) | instskip(SKIP_1) | instid1(VALU_DEP_3)
	v_add_co_u32 v92, s0, v2, v0
	s_wait_alu 0xf1ff
	v_add_co_ci_u32_e64 v93, s0, v3, v1, s0
	s_clause 0x17
	global_load_b128 v[0:3], v[92:93], off
	global_load_b128 v[4:7], v[92:93], off offset:1008
	global_load_b128 v[8:11], v[92:93], off offset:2016
	;; [unrolled: 1-line block ×23, first 2 shown]
	s_wait_loadcnt 0x17
	ds_store_b128 v96, v[0:3]
	s_wait_loadcnt 0x16
	ds_store_b128 v96, v[4:7] offset:1008
	s_wait_loadcnt 0x15
	ds_store_b128 v96, v[8:11] offset:2016
	;; [unrolled: 2-line block ×23, first 2 shown]
.LBB0_13:
	s_or_b32 exec_lo, exec_lo, s1
	v_lshlrev_b32_e32 v113, 4, v112
	global_wb scope:SCOPE_SE
	s_wait_dscnt 0x0
	s_barrier_signal -1
	s_barrier_wait -1
	global_inv scope:SCOPE_SE
	v_add_nc_u32_e32 v130, 0, v113
	v_lshl_add_u32 v100, v124, 5, 0
	v_lshl_add_u32 v136, v123, 5, 0
	;; [unrolled: 1-line block ×4, first 2 shown]
	ds_load_b128 v[0:3], v130
	ds_load_b128 v[4:7], v130 offset:1008
	ds_load_b128 v[8:11], v130 offset:12096
	;; [unrolled: 1-line block ×23, first 2 shown]
	s_wait_dscnt 0x15
	v_add_f64_e64 v[8:9], v[0:1], -v[8:9]
	v_add_f64_e64 v[10:11], v[2:3], -v[10:11]
	s_wait_dscnt 0x14
	v_add_f64_e64 v[12:13], v[4:5], -v[12:13]
	v_add_f64_e64 v[14:15], v[6:7], -v[14:15]
	;; [unrolled: 3-line block ×9, first 2 shown]
	s_wait_dscnt 0x1
	v_add_f64_e64 v[88:89], v[80:81], -v[88:89]
	s_wait_dscnt 0x0
	v_add_f64_e64 v[96:97], v[84:85], -v[92:93]
	v_add_f64_e64 v[98:99], v[86:87], -v[94:95]
	;; [unrolled: 1-line block ×5, first 2 shown]
	v_add_nc_u32_e32 v101, v130, v113
	v_lshl_add_u32 v92, v114, 5, 0
	v_lshl_add_u32 v93, v127, 5, 0
	;; [unrolled: 1-line block ×4, first 2 shown]
	global_wb scope:SCOPE_SE
	s_barrier_signal -1
	s_barrier_wait -1
	global_inv scope:SCOPE_SE
	v_lshl_add_u32 v133, v120, 5, 0
	v_lshl_add_u32 v131, v118, 5, 0
	;; [unrolled: 1-line block ×5, first 2 shown]
	v_fma_f64 v[0:1], v[0:1], 2.0, -v[8:9]
	v_fma_f64 v[2:3], v[2:3], 2.0, -v[10:11]
	;; [unrolled: 1-line block ×24, first 2 shown]
	v_lshl_add_u32 v139, v126, 4, 0
	v_lshlrev_b32_e32 v115, 4, v123
	v_lshl_add_u32 v138, v125, 4, 0
	v_lshlrev_b32_e32 v142, 4, v122
	;; [unrolled: 2-line block ×3, first 2 shown]
	v_lshlrev_b32_e32 v144, 4, v120
	v_lshlrev_b32_e32 v145, 4, v119
	;; [unrolled: 1-line block ×4, first 2 shown]
	s_mov_b32 s2, 0xe8584caa
	v_sub_nc_u32_e32 v129, v133, v144
	s_mov_b32 s3, 0xbfebb67a
	s_mov_b32 s7, 0x3febb67a
	ds_store_b128 v101, v[0:3]
	ds_store_b128 v101, v[8:11] offset:16
	ds_store_b128 v92, v[4:7]
	ds_store_b128 v92, v[12:15] offset:16
	;; [unrolled: 2-line block ×8, first 2 shown]
	v_and_b32_e32 v95, 1, v114
	v_and_b32_e32 v94, 1, v112
	;; [unrolled: 1-line block ×3, first 2 shown]
	v_lshlrev_b32_e32 v92, 1, v123
	ds_store_b128 v134, v[64:67]
	ds_store_b128 v134, v[72:75] offset:16
	v_lshlrev_b32_e32 v0, 4, v95
	ds_store_b128 v133, v[68:71]
	ds_store_b128 v133, v[76:79] offset:16
	ds_store_b128 v132, v[80:83]
	ds_store_b128 v132, v[88:91] offset:16
	ds_store_b128 v131, v[84:87]
	ds_store_b128 v131, v[96:99] offset:16
	v_and_b32_e32 v96, 1, v126
	v_lshlrev_b32_e32 v1, 4, v94
	global_wb scope:SCOPE_SE
	s_wait_dscnt 0x0
	s_barrier_signal -1
	s_barrier_wait -1
	global_inv scope:SCOPE_SE
	v_and_b32_e32 v97, 1, v124
	s_clause 0x1
	global_load_b128 v[4:7], v0, s[4:5]
	global_load_b128 v[0:3], v1, s[4:5]
	v_lshlrev_b32_e32 v8, 4, v96
	v_and_b32_e32 v98, 1, v122
	v_and_b32_e32 v99, 1, v120
	v_lshlrev_b32_e32 v12, 4, v97
	v_sub_nc_u32_e32 v84, v136, v115
	global_load_b128 v[8:11], v8, s[4:5]
	v_lshlrev_b32_e32 v16, 4, v98
	v_lshlrev_b32_e32 v17, 4, v99
	s_clause 0x2
	global_load_b128 v[12:15], v12, s[4:5]
	global_load_b128 v[24:27], v16, s[4:5]
	;; [unrolled: 1-line block ×3, first 2 shown]
	v_lshlrev_b32_e32 v16, 4, v100
	v_sub_nc_u32_e32 v85, v135, v142
	v_sub_nc_u32_e32 v86, v134, v143
	v_lshlrev_b32_e32 v87, 1, v114
	v_lshlrev_b32_e32 v88, 1, v127
	global_load_b128 v[16:19], v16, s[4:5]
	ds_load_b128 v[28:31], v130 offset:13104
	ds_load_b128 v[32:35], v130 offset:12096
	;; [unrolled: 1-line block ×11, first 2 shown]
	ds_load_b128 v[44:47], v130
	ds_load_b128 v[60:63], v130 offset:23184
	ds_load_b128 v[48:51], v141
	v_lshlrev_b32_e32 v89, 1, v126
	v_lshlrev_b32_e32 v90, 1, v125
	;; [unrolled: 1-line block ×4, first 2 shown]
	v_and_or_b32 v111, 0x7c, v128, v94
	v_and_or_b32 v95, 0xfc, v87, v95
	s_wait_alu 0xfffe
	s_mov_b32 s6, s2
	v_cmp_gt_u32_e64 s0, 9, v112
	s_delay_alu instid0(VALU_DEP_2)
	v_lshl_add_u32 v95, v95, 4, 0
	s_wait_loadcnt_dscnt 0x60d
	v_mul_f64_e32 v[101:102], v[30:31], v[6:7]
	s_wait_loadcnt_dscnt 0x50c
	v_mul_f64_e32 v[103:104], v[34:35], v[2:3]
	v_mul_f64_e32 v[105:106], v[32:33], v[2:3]
	;; [unrolled: 1-line block ×3, first 2 shown]
	s_wait_dscnt 0xa
	v_mul_f64_e32 v[109:110], v[42:43], v[2:3]
	v_mul_f64_e32 v[147:148], v[40:41], v[2:3]
	s_wait_dscnt 0x8
	v_mul_f64_e32 v[153:154], v[58:59], v[2:3]
	s_wait_loadcnt 0x4
	v_mul_f64_e32 v[107:108], v[38:39], v[10:11]
	v_mul_f64_e32 v[149:150], v[36:37], v[10:11]
	;; [unrolled: 1-line block ×3, first 2 shown]
	s_wait_loadcnt 0x3
	v_mul_f64_e32 v[151:152], v[54:55], v[14:15]
	v_mul_f64_e32 v[157:158], v[52:53], v[14:15]
	s_wait_loadcnt_dscnt 0x207
	v_mul_f64_e32 v[159:160], v[78:79], v[26:27]
	s_wait_dscnt 0x6
	v_mul_f64_e32 v[161:162], v[82:83], v[2:3]
	v_mul_f64_e32 v[163:164], v[80:81], v[2:3]
	;; [unrolled: 1-line block ×3, first 2 shown]
	s_wait_loadcnt_dscnt 0x104
	v_mul_f64_e32 v[167:168], v[74:75], v[22:23]
	v_mul_f64_e32 v[169:170], v[70:71], v[2:3]
	;; [unrolled: 1-line block ×4, first 2 shown]
	s_wait_dscnt 0x3
	v_mul_f64_e32 v[175:176], v[66:67], v[2:3]
	v_mul_f64_e32 v[2:3], v[64:65], v[2:3]
	s_wait_loadcnt_dscnt 0x1
	v_mul_f64_e32 v[177:178], v[62:63], v[18:19]
	v_mul_f64_e32 v[179:180], v[60:61], v[18:19]
	v_lshlrev_b32_e32 v10, 1, v121
	v_lshlrev_b32_e32 v11, 1, v120
	v_lshlrev_b32_e32 v14, 1, v119
	v_lshlrev_b32_e32 v15, 1, v118
	v_and_b32_e32 v18, 3, v114
	v_and_b32_e32 v27, 3, v112
	;; [unrolled: 1-line block ×6, first 2 shown]
	v_fma_f64 v[101:102], v[28:29], v[4:5], v[101:102]
	v_fma_f64 v[103:104], v[32:33], v[0:1], v[103:104]
	v_fma_f64 v[105:106], v[34:35], v[0:1], -v[105:106]
	v_fma_f64 v[181:182], v[30:31], v[4:5], -v[6:7]
	v_fma_f64 v[109:110], v[40:41], v[0:1], v[109:110]
	v_fma_f64 v[147:148], v[42:43], v[0:1], -v[147:148]
	v_fma_f64 v[153:154], v[56:57], v[0:1], v[153:154]
	v_fma_f64 v[107:108], v[36:37], v[8:9], v[107:108]
	v_fma_f64 v[149:150], v[38:39], v[8:9], -v[149:150]
	v_fma_f64 v[155:156], v[58:59], v[0:1], -v[155:156]
	v_fma_f64 v[151:152], v[52:53], v[12:13], v[151:152]
	v_fma_f64 v[12:13], v[54:55], v[12:13], -v[157:158]
	v_fma_f64 v[157:158], v[76:77], v[24:25], v[159:160]
	v_fma_f64 v[159:160], v[80:81], v[0:1], v[161:162]
	v_fma_f64 v[161:162], v[82:83], v[0:1], -v[163:164]
	v_fma_f64 v[24:25], v[78:79], v[24:25], -v[165:166]
	v_fma_f64 v[163:164], v[72:73], v[20:21], v[167:168]
	v_fma_f64 v[165:166], v[68:69], v[0:1], v[169:170]
	v_fma_f64 v[167:168], v[70:71], v[0:1], -v[171:172]
	v_fma_f64 v[20:21], v[74:75], v[20:21], -v[173:174]
	v_fma_f64 v[169:170], v[64:65], v[0:1], v[175:176]
	v_fma_f64 v[171:172], v[66:67], v[0:1], -v[2:3]
	v_fma_f64 v[173:174], v[60:61], v[16:17], v[177:178]
	ds_load_b128 v[0:3], v140
	ds_load_b128 v[4:7], v139
	v_fma_f64 v[16:17], v[62:63], v[16:17], -v[179:180]
	ds_load_b128 v[28:31], v138
	ds_load_b128 v[32:35], v137
	;; [unrolled: 1-line block ×4, first 2 shown]
	v_sub_nc_u32_e32 v8, v132, v145
	v_sub_nc_u32_e32 v9, v131, v146
	ds_load_b128 v[52:55], v86
	ds_load_b128 v[56:59], v129
	;; [unrolled: 1-line block ×4, first 2 shown]
	v_and_or_b32 v175, 0x1fc, v88, v94
	global_wb scope:SCOPE_SE
	s_wait_dscnt 0x0
	s_barrier_signal -1
	s_barrier_wait -1
	v_add_f64_e64 v[72:73], v[48:49], -v[101:102]
	v_add_f64_e64 v[68:69], v[44:45], -v[103:104]
	;; [unrolled: 1-line block ×4, first 2 shown]
	global_inv scope:SCOPE_SE
	v_add_f64_e64 v[76:77], v[0:1], -v[109:110]
	v_add_f64_e64 v[78:79], v[2:3], -v[147:148]
	;; [unrolled: 1-line block ×19, first 2 shown]
	v_and_or_b32 v12, 0x1fc, v89, v96
	v_add_f64_e64 v[169:170], v[66:67], -v[16:17]
	v_and_or_b32 v13, 0x3fc, v90, v94
	v_and_or_b32 v16, 0x2fc, v91, v97
	;; [unrolled: 1-line block ×8, first 2 shown]
	v_lshlrev_b32_e32 v96, 4, v18
	v_lshl_add_u32 v100, v111, 4, 0
	v_lshlrev_b32_e32 v99, 4, v27
	v_lshlrev_b32_e32 v97, 4, v19
	v_fma_f64 v[48:49], v[48:49], 2.0, -v[72:73]
	v_fma_f64 v[44:45], v[44:45], 2.0, -v[68:69]
	;; [unrolled: 1-line block ×4, first 2 shown]
	v_lshl_add_u32 v109, v175, 4, 0
	v_fma_f64 v[0:1], v[0:1], 2.0, -v[76:77]
	v_fma_f64 v[2:3], v[2:3], 2.0, -v[78:79]
	;; [unrolled: 1-line block ×19, first 2 shown]
	v_lshl_add_u32 v12, v12, 4, 0
	v_fma_f64 v[66:67], v[66:67], 2.0, -v[169:170]
	v_lshl_add_u32 v13, v13, 4, 0
	v_lshl_add_u32 v16, v16, 4, 0
	;; [unrolled: 1-line block ×8, first 2 shown]
	ds_store_b128 v100, v[44:47]
	ds_store_b128 v100, v[68:71] offset:32
	ds_store_b128 v95, v[48:51]
	ds_store_b128 v95, v[72:75] offset:32
	;; [unrolled: 2-line block ×12, first 2 shown]
	global_wb scope:SCOPE_SE
	s_wait_dscnt 0x0
	s_barrier_signal -1
	s_barrier_wait -1
	global_inv scope:SCOPE_SE
	s_clause 0x1
	global_load_b128 v[28:31], v96, s[4:5] offset:32
	global_load_b128 v[32:35], v99, s[4:5] offset:32
	v_lshlrev_b32_e32 v98, 4, v22
	v_and_b32_e32 v12, 3, v122
	v_lshlrev_b32_e32 v0, 4, v23
	global_load_b128 v[36:39], v97, s[4:5] offset:32
	v_lshlrev_b32_e32 v1, 4, v26
	global_load_b128 v[40:43], v98, s[4:5] offset:32
	v_and_b32_e32 v13, 3, v120
	global_load_b128 v[44:47], v0, s[4:5] offset:32
	v_and_b32_e32 v16, 3, v119
	global_load_b128 v[48:51], v1, s[4:5] offset:32
	v_lshlrev_b32_e32 v0, 4, v12
	v_and_b32_e32 v17, 3, v118
	v_lshlrev_b32_e32 v1, 4, v13
	global_load_b128 v[52:55], v0, s[4:5] offset:32
	v_lshlrev_b32_e32 v0, 4, v16
	v_lshlrev_b32_e32 v2, 4, v17
	s_clause 0x2
	global_load_b128 v[56:59], v1, s[4:5] offset:32
	global_load_b128 v[60:63], v0, s[4:5] offset:32
	;; [unrolled: 1-line block ×3, first 2 shown]
	ds_load_b128 v[68:71], v130 offset:13104
	ds_load_b128 v[72:75], v130 offset:12096
	;; [unrolled: 1-line block ×11, first 2 shown]
	ds_load_b128 v[0:3], v130
	ds_load_b128 v[159:162], v130 offset:23184
	ds_load_b128 v[4:7], v141
	s_wait_loadcnt_dscnt 0x90d
	v_mul_f64_e32 v[20:21], v[70:71], v[30:31]
	s_wait_loadcnt_dscnt 0x80c
	v_mul_f64_e32 v[24:25], v[74:75], v[34:35]
	v_mul_f64_e32 v[110:111], v[72:73], v[34:35]
	;; [unrolled: 1-line block ×3, first 2 shown]
	s_wait_dscnt 0x8
	v_mul_f64_e32 v[169:170], v[100:101], v[34:35]
	s_wait_loadcnt 0x7
	v_mul_f64_e32 v[163:164], v[78:79], v[38:39]
	v_mul_f64_e32 v[38:39], v[76:77], v[38:39]
	s_wait_loadcnt 0x6
	v_mul_f64_e32 v[165:166], v[82:83], v[42:43]
	v_mul_f64_e32 v[42:43], v[80:81], v[42:43]
	;; [unrolled: 1-line block ×3, first 2 shown]
	s_wait_loadcnt 0x5
	v_mul_f64_e32 v[167:168], v[96:97], v[46:47]
	v_mul_f64_e32 v[46:47], v[94:95], v[46:47]
	s_wait_loadcnt_dscnt 0x407
	v_mul_f64_e32 v[173:174], v[104:105], v[50:51]
	v_mul_f64_e32 v[50:51], v[102:103], v[50:51]
	s_wait_dscnt 0x5
	v_mul_f64_e32 v[177:178], v[149:150], v[34:35]
	v_mul_f64_e32 v[34:35], v[147:148], v[34:35]
	s_wait_loadcnt 0x3
	v_mul_f64_e32 v[175:176], v[108:109], v[54:55]
	v_mul_f64_e32 v[54:55], v[106:107], v[54:55]
	s_wait_loadcnt_dscnt 0x204
	v_mul_f64_e32 v[179:180], v[153:154], v[58:59]
	v_mul_f64_e32 v[58:59], v[151:152], v[58:59]
	s_wait_loadcnt_dscnt 0x103
	;; [unrolled: 3-line block ×3, first 2 shown]
	v_mul_f64_e32 v[183:184], v[161:162], v[66:67]
	v_mul_f64_e32 v[66:67], v[159:160], v[66:67]
	v_fma_f64 v[20:21], v[68:69], v[28:29], v[20:21]
	v_fma_f64 v[24:25], v[72:73], v[32:33], v[24:25]
	v_fma_f64 v[72:73], v[74:75], v[32:33], -v[110:111]
	v_fma_f64 v[110:111], v[70:71], v[28:29], -v[30:31]
	v_fma_f64 v[98:99], v[98:99], v[32:33], v[169:170]
	v_fma_f64 v[163:164], v[76:77], v[36:37], v[163:164]
	v_fma_f64 v[185:186], v[78:79], v[36:37], -v[38:39]
	v_fma_f64 v[165:166], v[80:81], v[40:41], v[165:166]
	v_fma_f64 v[81:82], v[82:83], v[40:41], -v[42:43]
	v_fma_f64 v[100:101], v[100:101], v[32:33], -v[171:172]
	v_fma_f64 v[167:168], v[94:95], v[44:45], v[167:168]
	v_fma_f64 v[169:170], v[96:97], v[44:45], -v[46:47]
	v_fma_f64 v[171:172], v[102:103], v[48:49], v[173:174]
	;; [unrolled: 2-line block ×3, first 2 shown]
	v_fma_f64 v[189:190], v[149:150], v[32:33], -v[34:35]
	ds_load_b128 v[28:31], v140
	v_fma_f64 v[175:176], v[106:107], v[52:53], v[175:176]
	v_fma_f64 v[187:188], v[108:109], v[52:53], -v[54:55]
	v_and_or_b32 v83, 0x1f8, v89, v22
	v_fma_f64 v[179:180], v[151:152], v[56:57], v[179:180]
	v_fma_f64 v[191:192], v[153:154], v[56:57], -v[58:59]
	v_fma_f64 v[181:182], v[155:156], v[60:61], v[181:182]
	v_fma_f64 v[193:194], v[157:158], v[60:61], -v[62:63]
	;; [unrolled: 2-line block ×3, first 2 shown]
	ds_load_b128 v[32:35], v139
	ds_load_b128 v[36:39], v138
	;; [unrolled: 1-line block ×9, first 2 shown]
	v_and_or_b32 v8, 0x78, v128, v27
	v_and_or_b32 v89, 0x3f8, v92, v26
	v_and_or_b32 v92, 0x4f8, v11, v13
	v_and_b32_e32 v68, 7, v112
	global_wb scope:SCOPE_SE
	s_wait_dscnt 0x0
	v_lshl_add_u32 v129, v8, 4, 0
	s_barrier_signal -1
	s_barrier_wait -1
	global_inv scope:SCOPE_SE
	v_add_f64_e64 v[69:70], v[0:1], -v[24:25]
	v_add_f64_e64 v[71:72], v[2:3], -v[72:73]
	;; [unrolled: 1-line block ×18, first 2 shown]
	v_and_or_b32 v82, 0x1f8, v88, v19
	v_add_f64_e64 v[155:156], v[52:53], -v[179:180]
	v_add_f64_e64 v[157:158], v[54:55], -v[191:192]
	;; [unrolled: 1-line block ×6, first 2 shown]
	v_and_or_b32 v88, 0x2f8, v91, v23
	v_and_or_b32 v91, 0x7f8, v10, v27
	;; [unrolled: 1-line block ×7, first 2 shown]
	v_lshlrev_b32_e32 v111, 5, v68
	v_fma_f64 v[0:1], v[0:1], 2.0, -v[69:70]
	v_fma_f64 v[2:3], v[2:3], 2.0, -v[71:72]
	;; [unrolled: 1-line block ×18, first 2 shown]
	v_lshl_add_u32 v48, v81, 4, 0
	v_fma_f64 v[36:37], v[52:53], 2.0, -v[155:156]
	v_fma_f64 v[38:39], v[54:55], 2.0, -v[157:158]
	;; [unrolled: 1-line block ×6, first 2 shown]
	v_lshl_add_u32 v49, v82, 4, 0
	v_lshl_add_u32 v50, v83, 4, 0
	;; [unrolled: 1-line block ×10, first 2 shown]
	ds_store_b128 v129, v[0:3]
	ds_store_b128 v129, v[69:72] offset:64
	ds_store_b128 v48, v[4:7]
	ds_store_b128 v48, v[73:76] offset:64
	;; [unrolled: 2-line block ×12, first 2 shown]
	v_and_b32_e32 v72, 7, v114
	global_wb scope:SCOPE_SE
	s_wait_dscnt 0x0
	s_barrier_signal -1
	s_barrier_wait -1
	global_inv scope:SCOPE_SE
	s_clause 0x1
	global_load_b128 v[0:3], v111, s[4:5] offset:96
	global_load_b128 v[8:11], v111, s[4:5] offset:112
	v_lshlrev_b32_e32 v4, 5, v72
	s_clause 0x1
	global_load_b128 v[12:15], v4, s[4:5] offset:96
	global_load_b128 v[4:7], v4, s[4:5] offset:112
	v_and_b32_e32 v73, 7, v127
	v_and_b32_e32 v74, 7, v126
	;; [unrolled: 1-line block ×5, first 2 shown]
	v_lshlrev_b32_e32 v16, 5, v73
	v_lshlrev_b32_e32 v24, 5, v74
	;; [unrolled: 1-line block ×3, first 2 shown]
	s_clause 0x5
	global_load_b128 v[20:23], v16, s[4:5] offset:96
	global_load_b128 v[16:19], v16, s[4:5] offset:112
	;; [unrolled: 1-line block ×6, first 2 shown]
	v_lshlrev_b32_e32 v40, 5, v76
	v_and_b32_e32 v78, 7, v122
	v_lshlrev_b32_e32 v41, 5, v77
	v_lshrrev_b32_e32 v91, 3, v126
	v_lshrrev_b32_e32 v92, 3, v125
	s_clause 0x2
	global_load_b128 v[52:55], v40, s[4:5] offset:96
	global_load_b128 v[48:51], v40, s[4:5] offset:112
	;; [unrolled: 1-line block ×3, first 2 shown]
	v_lshlrev_b32_e32 v60, 5, v78
	s_clause 0x2
	global_load_b128 v[40:43], v41, s[4:5] offset:112
	global_load_b128 v[56:59], v60, s[4:5] offset:96
	;; [unrolled: 1-line block ×3, first 2 shown]
	ds_load_b128 v[64:67], v86
	ds_load_b128 v[87:90], v130 offset:9072
	ds_load_b128 v[80:83], v130 offset:16128
	v_lshrrev_b32_e32 v93, 3, v124
	v_lshrrev_b32_e32 v70, 3, v114
	;; [unrolled: 1-line block ×4, first 2 shown]
	v_and_b32_e32 v100, 0xff, v112
	v_lshrrev_b32_e32 v101, 3, v122
	v_and_b32_e32 v102, 0xff, v114
	v_mul_lo_u32 v205, v91, 24
	v_mul_lo_u32 v206, v92, 24
	;; [unrolled: 1-line block ×3, first 2 shown]
	ds_load_b128 v[91:94], v130 offset:17136
	ds_load_b128 v[95:98], v85
	v_mul_lo_u32 v111, v70, 24
	v_mul_lo_u32 v129, v79, 24
	;; [unrolled: 1-line block ×3, first 2 shown]
	v_mul_lo_u16 v70, 0xab, v100
	v_mul_lo_u32 v209, v101, 24
	v_mul_lo_u16 v79, 0xab, v102
	ds_load_b128 v[99:102], v130 offset:10080
	ds_load_b128 v[103:106], v130 offset:18144
	ds_load_b128 v[107:110], v130
	v_lshrrev_b32_e32 v69, 3, v112
	v_and_b32_e32 v71, 0xff, v127
	ds_load_b128 v[147:150], v130 offset:11088
	ds_load_b128 v[155:158], v130 offset:12096
	;; [unrolled: 1-line block ×4, first 2 shown]
	v_mul_u32_u24_e32 v69, 24, v69
	v_mul_lo_u16 v163, 0xab, v71
	v_or_b32_e32 v211, v206, v75
	v_or_b32_e32 v207, v207, v76
	;; [unrolled: 1-line block ×4, first 2 shown]
	v_lshrrev_b16 v68, 12, v70
	v_lshrrev_b16 v70, 12, v163
	ds_load_b128 v[163:166], v130 offset:13104
	ds_load_b128 v[167:170], v130 offset:21168
	;; [unrolled: 1-line block ×6, first 2 shown]
	v_lshrrev_b16 v69, 12, v79
	v_or_b32_e32 v209, v209, v78
	v_lshl_add_u32 v210, v210, 4, 0
	v_mul_lo_u16 v71, v71, 57
	s_delay_alu instid0(VALU_DEP_4)
	v_mul_lo_u16 v212, v69, 24
	s_wait_loadcnt_dscnt 0xf11
	v_mul_f64_e32 v[187:188], v[66:67], v[2:3]
	s_wait_loadcnt_dscnt 0xe0f
	v_mul_f64_e32 v[189:190], v[82:83], v[10:11]
	v_mul_f64_e32 v[10:11], v[80:81], v[10:11]
	;; [unrolled: 1-line block ×3, first 2 shown]
	s_wait_loadcnt 0xd
	v_mul_f64_e32 v[191:192], v[89:90], v[14:15]
	v_mul_f64_e32 v[14:15], v[87:88], v[14:15]
	s_wait_loadcnt_dscnt 0xc0e
	v_mul_f64_e32 v[193:194], v[93:94], v[6:7]
	v_mul_f64_e32 v[6:7], v[91:92], v[6:7]
	s_wait_loadcnt_dscnt 0xb0c
	;; [unrolled: 3-line block ×6, first 2 shown]
	v_mul_f64_e32 v[203:204], v[161:162], v[34:35]
	v_mul_f64_e32 v[34:35], v[159:160], v[34:35]
	v_fma_f64 v[64:65], v[64:65], v[0:1], v[187:188]
	v_mul_f64_e32 v[187:188], v[157:158], v[38:39]
	v_mul_f64_e32 v[38:39], v[155:156], v[38:39]
	v_fma_f64 v[79:80], v[80:81], v[8:9], v[189:190]
	v_fma_f64 v[81:82], v[82:83], v[8:9], -v[10:11]
	s_wait_loadcnt_dscnt 0x505
	v_mul_f64_e32 v[8:9], v[165:166], v[54:55]
	v_mul_f64_e32 v[10:11], v[163:164], v[54:55]
	s_wait_loadcnt_dscnt 0x404
	v_mul_f64_e32 v[54:55], v[169:170], v[50:51]
	v_mul_f64_e32 v[50:51], v[167:168], v[50:51]
	v_fma_f64 v[87:88], v[87:88], v[12:13], v[191:192]
	v_fma_f64 v[89:90], v[89:90], v[12:13], -v[14:15]
	s_wait_loadcnt_dscnt 0x303
	v_mul_f64_e32 v[12:13], v[173:174], v[46:47]
	v_mul_f64_e32 v[14:15], v[171:172], v[46:47]
	s_wait_loadcnt_dscnt 0x201
	v_mul_f64_e32 v[46:47], v[181:182], v[42:43]
	v_mul_f64_e32 v[42:43], v[179:180], v[42:43]
	s_wait_loadcnt 0x1
	v_mul_f64_e32 v[189:190], v[177:178], v[58:59]
	v_mul_f64_e32 v[58:59], v[175:176], v[58:59]
	s_wait_loadcnt_dscnt 0x0
	v_mul_f64_e32 v[191:192], v[185:186], v[62:63]
	v_mul_f64_e32 v[62:63], v[183:184], v[62:63]
	v_fma_f64 v[66:67], v[66:67], v[0:1], -v[2:3]
	v_fma_f64 v[91:92], v[91:92], v[4:5], v[193:194]
	v_fma_f64 v[93:94], v[93:94], v[4:5], -v[6:7]
	v_or_b32_e32 v0, v111, v72
	v_or_b32_e32 v111, v129, v73
	;; [unrolled: 1-line block ×3, first 2 shown]
	v_fma_f64 v[72:73], v[99:100], v[20:21], v[195:196]
	v_fma_f64 v[74:75], v[101:102], v[20:21], -v[22:23]
	v_fma_f64 v[76:77], v[103:104], v[16:17], v[197:198]
	v_fma_f64 v[99:100], v[105:106], v[16:17], -v[18:19]
	v_fma_f64 v[101:102], v[147:148], v[28:29], v[199:200]
	v_fma_f64 v[28:29], v[149:150], v[28:29], -v[30:31]
	v_fma_f64 v[30:31], v[151:152], v[24:25], v[201:202]
	v_fma_f64 v[24:25], v[153:154], v[24:25], -v[26:27]
	v_mul_lo_u16 v1, v68, 24
	v_lshl_add_u32 v213, v0, 4, 0
	s_delay_alu instid0(VALU_DEP_2)
	v_sub_nc_u16 v214, v112, v1
	v_fma_f64 v[26:27], v[155:156], v[36:37], v[187:188]
	v_fma_f64 v[36:37], v[157:158], v[36:37], -v[38:39]
	v_fma_f64 v[38:39], v[159:160], v[32:33], v[203:204]
	v_fma_f64 v[32:33], v[161:162], v[32:33], -v[34:35]
	;; [unrolled: 2-line block ×4, first 2 shown]
	ds_load_b128 v[0:3], v141
	ds_load_b128 v[4:7], v140
	v_add_f64_e32 v[147:148], v[107:108], v[64:65]
	v_fma_f64 v[50:51], v[171:172], v[44:45], v[12:13]
	v_fma_f64 v[44:45], v[173:174], v[44:45], -v[14:15]
	v_fma_f64 v[46:47], v[179:180], v[40:41], v[46:47]
	v_fma_f64 v[40:41], v[181:182], v[40:41], -v[42:43]
	;; [unrolled: 2-line block ×4, first 2 shown]
	ds_load_b128 v[8:11], v139
	ds_load_b128 v[12:15], v138
	;; [unrolled: 1-line block ×4, first 2 shown]
	v_add_f64_e32 v[62:63], v[64:65], v[79:80]
	v_add_f64_e32 v[103:104], v[66:67], v[81:82]
	;; [unrolled: 1-line block ×5, first 2 shown]
	v_add_f64_e64 v[66:67], v[66:67], -v[81:82]
	v_add_f64_e64 v[64:65], v[64:65], -v[79:80]
	v_add_f64_e32 v[157:158], v[72:73], v[76:77]
	v_add_f64_e32 v[159:160], v[74:75], v[99:100]
	s_wait_dscnt 0x5
	v_add_f64_e32 v[153:154], v[2:3], v[89:90]
	v_add_f64_e32 v[155:156], v[0:1], v[87:88]
	;; [unrolled: 1-line block ×4, first 2 shown]
	s_wait_dscnt 0x4
	v_add_f64_e32 v[161:162], v[6:7], v[74:75]
	v_add_f64_e64 v[179:180], v[28:29], -v[24:25]
	v_add_f64_e64 v[89:90], v[89:90], -v[93:94]
	s_wait_dscnt 0x3
	v_add_f64_e32 v[171:172], v[10:11], v[28:29]
	v_add_f64_e64 v[87:88], v[87:88], -v[91:92]
	v_add_f64_e32 v[163:164], v[4:5], v[72:73]
	s_wait_dscnt 0x2
	v_add_f64_e32 v[187:188], v[12:13], v[26:27]
	v_add_f64_e32 v[183:184], v[14:15], v[36:37]
	;; [unrolled: 1-line block ×4, first 2 shown]
	v_add_f64_e64 v[191:192], v[36:37], -v[32:33]
	v_add_f64_e64 v[193:194], v[26:27], -v[38:39]
	v_add_f64_e32 v[177:178], v[34:35], v[54:55]
	v_add_f64_e32 v[28:29], v[52:53], v[48:49]
	s_wait_dscnt 0x1
	v_add_f64_e32 v[26:27], v[18:19], v[52:53]
	v_add_f64_e64 v[74:75], v[74:75], -v[99:100]
	s_wait_dscnt 0x0
	v_add_f64_e32 v[199:200], v[20:21], v[50:51]
	v_add_f64_e32 v[197:198], v[22:23], v[44:45]
	;; [unrolled: 1-line block ×4, first 2 shown]
	v_add_f64_e64 v[72:73], v[72:73], -v[76:77]
	v_add_f64_e32 v[201:202], v[97:98], v[56:57]
	v_add_f64_e32 v[189:190], v[42:43], v[58:59]
	;; [unrolled: 1-line block ×3, first 2 shown]
	v_add_f64_e64 v[205:206], v[50:51], -v[46:47]
	v_fma_f64 v[62:63], v[62:63], -0.5, v[107:108]
	v_add_f64_e64 v[107:108], v[52:53], -v[48:49]
	v_fma_f64 v[52:53], v[103:104], -0.5, v[109:110]
	v_fma_f64 v[109:110], v[149:150], -0.5, v[0:1]
	;; [unrolled: 1-line block ×3, first 2 shown]
	v_add_f64_e32 v[195:196], v[16:17], v[34:35]
	v_add_f64_e32 v[175:176], v[8:9], v[101:102]
	v_fma_f64 v[50:51], v[157:158], -0.5, v[4:5]
	v_add_f64_e64 v[157:158], v[56:57], -v[60:61]
	v_fma_f64 v[56:57], v[159:160], -0.5, v[6:7]
	v_add_f64_e64 v[101:102], v[101:102], -v[30:31]
	v_add_f64_e32 v[203:204], v[95:96], v[42:43]
	v_fma_f64 v[165:166], v[165:166], -0.5, v[8:9]
	v_add_f64_e32 v[2:3], v[105:106], v[81:82]
	v_fma_f64 v[81:82], v[167:168], -0.5, v[10:11]
	v_add_f64_e32 v[0:1], v[147:148], v[79:80]
	v_add_f64_e32 v[6:7], v[153:154], v[93:94]
	v_add_f64_e64 v[103:104], v[34:35], -v[54:55]
	v_add_f64_e32 v[4:5], v[155:156], v[91:92]
	v_add_f64_e32 v[10:11], v[161:162], v[99:100]
	v_add_f64_e64 v[149:150], v[44:45], -v[40:41]
	v_fma_f64 v[78:79], v[169:170], -0.5, v[12:13]
	v_fma_f64 v[93:94], v[173:174], -0.5, v[14:15]
	v_add_f64_e64 v[159:160], v[42:43], -v[58:59]
	v_add_f64_e32 v[14:15], v[171:172], v[24:25]
	v_fma_f64 v[91:92], v[177:178], -0.5, v[16:17]
	v_fma_f64 v[99:100], v[28:29], -0.5, v[18:19]
	v_add_f64_e32 v[18:19], v[183:184], v[32:33]
	v_add_f64_e32 v[16:17], v[187:188], v[38:39]
	;; [unrolled: 1-line block ×4, first 2 shown]
	v_fma_f64 v[105:106], v[181:182], -0.5, v[20:21]
	v_fma_f64 v[147:148], v[185:186], -0.5, v[22:23]
	v_add_f64_e32 v[22:23], v[26:27], v[48:49]
	v_add_f64_e32 v[26:27], v[197:198], v[40:41]
	v_fma_f64 v[153:154], v[189:190], -0.5, v[95:96]
	v_fma_f64 v[155:156], v[36:37], -0.5, v[97:98]
	global_wb scope:SCOPE_SE
	v_fma_f64 v[32:33], v[66:67], s[2:3], v[62:63]
	s_wait_alu 0xfffe
	v_fma_f64 v[36:37], v[66:67], s[6:7], v[62:63]
	v_fma_f64 v[34:35], v[64:65], s[6:7], v[52:53]
	;; [unrolled: 1-line block ×10, first 2 shown]
	v_add_f64_e32 v[20:21], v[195:196], v[54:55]
	v_fma_f64 v[54:55], v[72:73], s[2:3], v[56:57]
	v_add_f64_e32 v[12:13], v[175:176], v[30:31]
	v_add_f64_e32 v[28:29], v[203:204], v[58:59]
	v_fma_f64 v[56:57], v[179:180], s[2:3], v[165:166]
	v_fma_f64 v[58:59], v[101:102], s[6:7], v[81:82]
	v_add_f64_e32 v[30:31], v[201:202], v[60:61]
	v_fma_f64 v[60:61], v[179:180], s[6:7], v[165:166]
	v_fma_f64 v[62:63], v[101:102], s[2:3], v[81:82]
	v_and_b32_e32 v64, 0xff, v214
	v_fma_f64 v[72:73], v[191:192], s[2:3], v[78:79]
	v_fma_f64 v[74:75], v[193:194], s[6:7], v[93:94]
	v_fma_f64 v[76:77], v[191:192], s[6:7], v[78:79]
	v_fma_f64 v[78:79], v[193:194], s[2:3], v[93:94]
	v_fma_f64 v[80:81], v[107:108], s[2:3], v[91:92]
	v_fma_f64 v[82:83], v[103:104], s[6:7], v[99:100]
	v_fma_f64 v[87:88], v[107:108], s[6:7], v[91:92]
	v_fma_f64 v[89:90], v[103:104], s[2:3], v[99:100]
	v_lshl_add_u32 v66, v111, 4, 0
	v_lshl_add_u32 v67, v129, 4, 0
	v_fma_f64 v[91:92], v[149:150], s[2:3], v[105:106]
	v_fma_f64 v[93:94], v[205:206], s[6:7], v[147:148]
	;; [unrolled: 1-line block ×8, first 2 shown]
	v_lshl_add_u32 v107, v211, 4, 0
	v_sub_nc_u16 v65, v114, v212
	v_lshl_add_u32 v108, v207, 4, 0
	v_lshl_add_u32 v109, v208, 4, 0
	;; [unrolled: 1-line block ×3, first 2 shown]
	s_barrier_signal -1
	s_barrier_wait -1
	global_inv scope:SCOPE_SE
	ds_store_b128 v210, v[0:3]
	ds_store_b128 v210, v[32:35] offset:128
	ds_store_b128 v210, v[36:39] offset:256
	ds_store_b128 v213, v[4:7]
	ds_store_b128 v213, v[40:43] offset:128
	ds_store_b128 v213, v[44:47] offset:256
	;; [unrolled: 3-line block ×8, first 2 shown]
	v_mul_lo_u16 v4, v70, 24
	v_lshlrev_b32_e32 v111, 5, v64
	v_and_b32_e32 v65, 0xff, v65
	v_and_b32_e32 v83, 0xff, v126
	global_wb scope:SCOPE_SE
	s_wait_dscnt 0x0
	v_sub_nc_u16 v14, v127, v4
	s_barrier_signal -1
	s_barrier_wait -1
	global_inv scope:SCOPE_SE
	global_load_b128 v[0:3], v111, s[4:5] offset:352
	v_lshlrev_b32_e32 v12, 5, v65
	v_and_b32_e32 v72, 0xff, v14
	v_and_b32_e32 v88, 0xffff, v125
	global_load_b128 v[8:11], v111, s[4:5] offset:368
	v_mul_lo_u16 v13, 0xab, v83
	s_clause 0x1
	global_load_b128 v[4:7], v12, s[4:5] offset:352
	global_load_b128 v[52:55], v12, s[4:5] offset:368
	v_lshlrev_b32_e32 v12, 5, v72
	v_and_b32_e32 v81, 0xffff, v124
	v_mul_u32_u24_e32 v15, 0xaaab, v88
	v_lshrrev_b16 v73, 12, v13
	v_and_b32_e32 v82, 0xffff, v123
	s_clause 0x1
	global_load_b128 v[56:59], v12, s[4:5] offset:352
	global_load_b128 v[20:23], v12, s[4:5] offset:368
	v_mul_u32_u24_e32 v13, 0xaaab, v81
	v_lshrrev_b32_e32 v80, 20, v15
	v_mul_lo_u16 v14, v73, 24
	v_and_b32_e32 v87, 0xffff, v122
	v_mul_u32_u24_e32 v15, 0xaaab, v82
	v_lshrrev_b32_e32 v76, 20, v13
	v_mov_b32_e32 v129, 0
	v_sub_nc_u16 v13, v126, v14
	v_mul_lo_u16 v14, v80, 24
	v_mul_u32_u24_e32 v16, 0xaaab, v87
	v_lshrrev_b32_e32 v77, 20, v15
	v_mul_lo_u16 v147, v83, 57
	v_and_b32_e32 v74, 0xff, v13
	v_sub_nc_u16 v13, v125, v14
	v_mul_lo_u16 v14, v76, 24
	v_lshrrev_b32_e32 v79, 20, v16
	v_mul_lo_u16 v16, v77, 24
	v_lshlrev_b32_e32 v17, 5, v74
	v_and_b32_e32 v75, 0xffff, v13
	v_sub_nc_u16 v18, v124, v14
	v_mul_lo_u16 v28, v79, 24
	v_sub_nc_u16 v30, v123, v16
	global_load_b128 v[12:15], v17, s[4:5] offset:352
	v_lshlrev_b32_e32 v29, 5, v75
	v_and_b32_e32 v78, 0xffff, v18
	v_sub_nc_u16 v33, v122, v28
	v_and_b32_e32 v66, 0xffff, v30
	s_clause 0x1
	global_load_b128 v[24:27], v17, s[4:5] offset:368
	global_load_b128 v[16:19], v29, s[4:5] offset:352
	v_mul_u32_u24_e32 v148, 0xe38f, v88
	v_lshlrev_b32_e32 v32, 5, v78
	v_and_b32_e32 v67, 0xffff, v33
	v_lshlrev_b32_e32 v34, 5, v66
	s_clause 0x3
	global_load_b128 v[40:43], v29, s[4:5] offset:368
	global_load_b128 v[28:31], v32, s[4:5] offset:352
	;; [unrolled: 1-line block ×4, first 2 shown]
	v_lshlrev_b32_e32 v60, 5, v67
	s_clause 0x2
	global_load_b128 v[32:35], v34, s[4:5] offset:368
	global_load_b128 v[48:51], v60, s[4:5] offset:352
	;; [unrolled: 1-line block ×3, first 2 shown]
	ds_load_b128 v[90:93], v86
	ds_load_b128 v[98:101], v130 offset:9072
	ds_load_b128 v[94:97], v130 offset:16128
	;; [unrolled: 1-line block ×3, first 2 shown]
	ds_load_b128 v[106:109], v85
	v_mul_u32_u24_e32 v151, 0xe38f, v81
	v_mul_u32_u24_e32 v217, 0xe38f, v82
	v_lshrrev_b16 v82, 12, v147
	v_lshrrev_b32_e32 v81, 22, v148
	ds_load_b128 v[147:150], v130 offset:10080
	v_mul_u32_u24_e32 v218, 0xe38f, v87
	v_lshrrev_b16 v83, 12, v71
	v_lshrrev_b32_e32 v71, 22, v151
	ds_load_b128 v[151:154], v130
	v_and_b32_e32 v211, 0xffff, v68
	v_and_b32_e32 v212, 0xffff, v69
	ds_load_b128 v[155:158], v130 offset:18144
	ds_load_b128 v[163:166], v130 offset:19152
	;; [unrolled: 1-line block ×11, first 2 shown]
	v_and_b32_e32 v73, 0xffff, v73
	v_lshlrev_b32_e32 v224, 4, v64
	v_lshlrev_b32_e32 v225, 4, v65
	;; [unrolled: 1-line block ×3, first 2 shown]
	v_mul_u32_u24_e32 v219, 0x480, v76
	v_mul_u32_u24_e32 v223, 0x480, v73
	;; [unrolled: 1-line block ×4, first 2 shown]
	v_lshlrev_b32_e32 v227, 4, v74
	v_lshlrev_b32_e32 v228, 4, v75
	;; [unrolled: 1-line block ×3, first 2 shown]
	v_add_nc_u32_e32 v89, -9, v112
	v_lshlrev_b64_e32 v[110:111], 4, v[128:129]
	v_mul_u32_u24_e32 v222, 0x480, v212
	v_and_b32_e32 v70, 0xffff, v70
	v_mul_u32_u24_e32 v80, 0x480, v80
	s_wait_alu 0xf1ff
	v_cndmask_b32_e64 v89, v89, v114, s0
	v_add_co_u32 v110, s0, s4, v110
	v_mul_u32_u24_e32 v70, 0x480, v70
	s_delay_alu instid0(VALU_DEP_3)
	v_lshlrev_b32_e32 v128, 1, v89
	s_wait_alu 0xf1ff
	v_add_co_ci_u32_e64 v111, s0, s5, v111, s0
	s_wait_loadcnt_dscnt 0xf11
	v_mul_f64_e32 v[87:88], v[92:93], v[2:3]
	v_mul_f64_e32 v[2:3], v[90:91], v[2:3]
	s_wait_loadcnt_dscnt 0xe0f
	v_mul_f64_e32 v[199:200], v[96:97], v[10:11]
	v_mul_f64_e32 v[10:11], v[94:95], v[10:11]
	s_wait_loadcnt 0xd
	v_mul_f64_e32 v[201:202], v[100:101], v[6:7]
	s_wait_loadcnt_dscnt 0xc0e
	v_mul_f64_e32 v[203:204], v[104:105], v[54:55]
	v_mul_f64_e32 v[54:55], v[102:103], v[54:55]
	;; [unrolled: 1-line block ×3, first 2 shown]
	s_wait_loadcnt_dscnt 0xb0c
	v_mul_f64_e32 v[68:69], v[149:150], v[58:59]
	v_mul_f64_e32 v[58:59], v[147:148], v[58:59]
	s_wait_loadcnt_dscnt 0xa0a
	v_mul_f64_e32 v[205:206], v[157:158], v[22:23]
	v_mul_f64_e32 v[22:23], v[155:156], v[22:23]
	s_wait_loadcnt_dscnt 0x908
	v_mul_f64_e32 v[207:208], v[161:162], v[14:15]
	v_fma_f64 v[87:88], v[90:91], v[0:1], v[87:88]
	v_fma_f64 v[90:91], v[92:93], v[0:1], -v[2:3]
	v_mul_f64_e32 v[14:15], v[159:160], v[14:15]
	s_wait_loadcnt 0x8
	v_mul_f64_e32 v[92:93], v[165:166], v[26:27]
	v_mul_f64_e32 v[26:27], v[163:164], v[26:27]
	s_wait_loadcnt_dscnt 0x707
	v_mul_f64_e32 v[209:210], v[169:170], v[18:19]
	v_fma_f64 v[94:95], v[94:95], v[8:9], v[199:200]
	v_fma_f64 v[96:97], v[96:97], v[8:9], -v[10:11]
	v_mul_f64_e32 v[8:9], v[167:168], v[18:19]
	s_wait_loadcnt_dscnt 0x606
	v_mul_f64_e32 v[10:11], v[173:174], v[42:43]
	v_mul_f64_e32 v[18:19], v[171:172], v[42:43]
	s_wait_loadcnt_dscnt 0x505
	v_mul_f64_e32 v[42:43], v[177:178], v[30:31]
	v_mul_f64_e32 v[30:31], v[175:176], v[30:31]
	s_wait_loadcnt_dscnt 0x404
	v_mul_f64_e32 v[199:200], v[181:182], v[46:47]
	v_mul_f64_e32 v[46:47], v[179:180], v[46:47]
	v_fma_f64 v[98:99], v[98:99], v[4:5], v[201:202]
	s_wait_loadcnt_dscnt 0x303
	v_mul_f64_e32 v[201:202], v[185:186], v[38:39]
	v_fma_f64 v[102:103], v[102:103], v[52:53], v[203:204]
	v_fma_f64 v[52:53], v[104:105], v[52:53], -v[54:55]
	v_mul_f64_e32 v[38:39], v[183:184], v[38:39]
	s_wait_loadcnt_dscnt 0x201
	v_mul_f64_e32 v[54:55], v[193:194], v[34:35]
	v_mul_f64_e32 v[34:35], v[191:192], v[34:35]
	s_wait_loadcnt 0x1
	v_mul_f64_e32 v[104:105], v[189:190], v[50:51]
	v_fma_f64 v[68:69], v[147:148], v[56:57], v[68:69]
	v_fma_f64 v[56:57], v[149:150], v[56:57], -v[58:59]
	v_mul_f64_e32 v[50:51], v[187:188], v[50:51]
	s_wait_loadcnt_dscnt 0x0
	v_mul_f64_e32 v[58:59], v[197:198], v[62:63]
	v_mul_f64_e32 v[62:63], v[195:196], v[62:63]
	v_fma_f64 v[100:101], v[100:101], v[4:5], -v[6:7]
	v_fma_f64 v[64:65], v[155:156], v[20:21], v[205:206]
	v_fma_f64 v[72:73], v[157:158], v[20:21], -v[22:23]
	ds_load_b128 v[0:3], v141
	ds_load_b128 v[4:7], v140
	v_lshlrev_b64_e32 v[203:204], 4, v[128:129]
	v_mul_u32_u24_e32 v128, 0x480, v211
	v_fma_f64 v[74:75], v[159:160], v[12:13], v[207:208]
	v_fma_f64 v[76:77], v[161:162], v[12:13], -v[14:15]
	v_fma_f64 v[78:79], v[163:164], v[24:25], v[92:93]
	v_fma_f64 v[24:25], v[165:166], v[24:25], -v[26:27]
	;; [unrolled: 2-line block ×6, first 2 shown]
	s_wait_dscnt 0x1
	v_add_f64_e32 v[159:160], v[0:1], v[98:99]
	v_fma_f64 v[46:47], v[183:184], v[36:37], v[201:202]
	v_add_f64_e32 v[149:150], v[98:99], v[102:103]
	ds_load_b128 v[8:11], v139
	ds_load_b128 v[12:15], v138
	;; [unrolled: 1-line block ×4, first 2 shown]
	v_fma_f64 v[36:37], v[185:186], v[36:37], -v[38:39]
	v_fma_f64 v[38:39], v[191:192], v[32:33], v[54:55]
	v_fma_f64 v[32:33], v[193:194], v[32:33], -v[34:35]
	v_fma_f64 v[34:35], v[187:188], v[48:49], v[104:105]
	v_add_f64_e32 v[104:105], v[151:152], v[87:88]
	s_wait_dscnt 0x4
	v_add_f64_e32 v[167:168], v[4:5], v[68:69]
	v_fma_f64 v[48:49], v[189:190], v[48:49], -v[50:51]
	v_fma_f64 v[50:51], v[195:196], v[60:61], v[58:59]
	v_fma_f64 v[54:55], v[197:198], v[60:61], -v[62:63]
	v_add_f64_e32 v[58:59], v[87:88], v[94:95]
	v_add_f64_e32 v[60:61], v[90:91], v[96:97]
	;; [unrolled: 1-line block ×8, first 2 shown]
	v_add_f64_e64 v[90:91], v[90:91], -v[96:97]
	v_add_f64_e64 v[87:88], v[87:88], -v[94:95]
	;; [unrolled: 1-line block ×4, first 2 shown]
	s_wait_dscnt 0x3
	v_add_f64_e32 v[175:176], v[10:11], v[76:77]
	v_add_f64_e32 v[169:170], v[74:75], v[78:79]
	;; [unrolled: 1-line block ×3, first 2 shown]
	s_wait_dscnt 0x2
	v_add_f64_e32 v[191:192], v[12:13], v[26:27]
	v_add_f64_e64 v[56:57], v[56:57], -v[72:73]
	v_add_f64_e64 v[68:69], v[68:69], -v[64:65]
	v_add_f64_e32 v[187:188], v[14:15], v[92:93]
	v_add_f64_e32 v[173:174], v[26:27], v[147:148]
	;; [unrolled: 1-line block ×3, first 2 shown]
	v_add_f64_e64 v[197:198], v[26:27], -v[147:148]
	s_wait_dscnt 0x1
	v_add_f64_e32 v[26:27], v[18:19], v[28:29]
	v_add_f64_e32 v[181:182], v[42:43], v[30:31]
	;; [unrolled: 1-line block ×4, first 2 shown]
	s_wait_dscnt 0x0
	v_add_f64_e32 v[205:206], v[20:21], v[46:47]
	v_add_f64_e32 v[179:180], v[8:9], v[74:75]
	v_add_f64_e64 v[76:77], v[76:77], -v[24:25]
	v_add_f64_e32 v[201:202], v[22:23], v[36:37]
	v_add_f64_e32 v[185:186], v[46:47], v[38:39]
	;; [unrolled: 1-line block ×4, first 2 shown]
	v_add_f64_e64 v[74:75], v[74:75], -v[78:79]
	v_add_f64_e64 v[92:93], v[92:93], -v[40:41]
	v_add_f64_e32 v[207:208], v[108:109], v[48:49]
	v_add_f64_e32 v[193:194], v[34:35], v[50:51]
	;; [unrolled: 1-line block ×3, first 2 shown]
	v_fma_f64 v[58:59], v[58:59], -0.5, v[151:152]
	v_fma_f64 v[60:61], v[60:61], -0.5, v[153:154]
	v_add_f64_e64 v[153:154], v[42:43], -v[30:31]
	v_fma_f64 v[42:43], v[149:150], -0.5, v[0:1]
	v_fma_f64 v[155:156], v[155:156], -0.5, v[2:3]
	;; [unrolled: 1-line block ×4, first 2 shown]
	v_add_f64_e32 v[2:3], v[62:63], v[96:97]
	v_add_f64_e32 v[0:1], v[104:105], v[94:95]
	v_add_f64_e64 v[151:152], v[28:29], -v[44:45]
	v_add_f64_e32 v[4:5], v[159:160], v[102:103]
	v_add_f64_e64 v[149:150], v[36:37], -v[32:33]
	v_add_f64_e64 v[211:212], v[46:47], -v[38:39]
	v_fma_f64 v[169:170], v[169:170], -0.5, v[8:9]
	v_fma_f64 v[62:63], v[171:172], -0.5, v[10:11]
	v_add_f64_e32 v[6:7], v[157:158], v[52:53]
	v_add_f64_e32 v[8:9], v[167:168], v[64:65]
	v_add_f64_e64 v[213:214], v[48:49], -v[54:55]
	v_add_f64_e64 v[215:216], v[34:35], -v[50:51]
	v_fma_f64 v[94:95], v[173:174], -0.5, v[12:13]
	v_fma_f64 v[96:97], v[177:178], -0.5, v[14:15]
	v_add_f64_e32 v[10:11], v[165:166], v[72:73]
	v_add_f64_e32 v[14:15], v[175:176], v[24:25]
	v_fma_f64 v[102:103], v[181:182], -0.5, v[16:17]
	v_fma_f64 v[104:105], v[183:184], -0.5, v[18:19]
	v_add_f64_e32 v[18:19], v[187:188], v[40:41]
	v_add_f64_e32 v[24:25], v[205:206], v[38:39]
	;; [unrolled: 1-line block ×4, first 2 shown]
	global_wb scope:SCOPE_SE
	v_fma_f64 v[64:65], v[185:186], -0.5, v[20:21]
	v_fma_f64 v[157:158], v[189:190], -0.5, v[22:23]
	v_add_f64_e32 v[22:23], v[26:27], v[44:45]
	v_add_f64_e32 v[26:27], v[201:202], v[32:33]
	;; [unrolled: 1-line block ×4, first 2 shown]
	v_fma_f64 v[159:160], v[193:194], -0.5, v[106:107]
	v_fma_f64 v[165:166], v[195:196], -0.5, v[108:109]
	v_fma_f64 v[32:33], v[90:91], s[2:3], v[58:59]
	v_fma_f64 v[34:35], v[87:88], s[6:7], v[60:61]
	v_fma_f64 v[36:37], v[90:91], s[6:7], v[58:59]
	v_fma_f64 v[38:39], v[87:88], s[2:3], v[60:61]
	v_fma_f64 v[40:41], v[100:101], s[2:3], v[42:43]
	v_fma_f64 v[44:45], v[100:101], s[6:7], v[42:43]
	v_fma_f64 v[42:43], v[98:99], s[6:7], v[155:156]
	v_fma_f64 v[46:47], v[98:99], s[2:3], v[155:156]
	v_fma_f64 v[48:49], v[56:57], s[2:3], v[161:162]
	v_fma_f64 v[50:51], v[68:69], s[6:7], v[163:164]
	v_add_f64_e32 v[30:31], v[207:208], v[54:55]
	v_fma_f64 v[52:53], v[56:57], s[6:7], v[161:162]
	v_fma_f64 v[54:55], v[68:69], s[2:3], v[163:164]
	;; [unrolled: 1-line block ×6, first 2 shown]
	v_add3_u32 v68, 0, v70, v226
	v_add3_u32 v69, 0, v223, v227
	v_fma_f64 v[72:73], v[92:93], s[2:3], v[94:95]
	v_fma_f64 v[74:75], v[197:198], s[6:7], v[96:97]
	;; [unrolled: 1-line block ×8, first 2 shown]
	v_add3_u32 v70, 0, v80, v228
	v_add3_u32 v80, 0, v219, v229
	s_barrier_signal -1
	v_fma_f64 v[98:99], v[149:150], s[2:3], v[64:65]
	v_fma_f64 v[100:101], v[211:212], s[6:7], v[157:158]
	;; [unrolled: 1-line block ×4, first 2 shown]
	v_lshlrev_b32_e32 v64, 4, v66
	v_lshlrev_b32_e32 v65, 4, v67
	v_fma_f64 v[106:107], v[213:214], s[2:3], v[159:160]
	v_fma_f64 v[108:109], v[215:216], s[6:7], v[165:166]
	;; [unrolled: 1-line block ×4, first 2 shown]
	v_add3_u32 v66, 0, v128, v224
	v_add3_u32 v67, 0, v222, v225
	;; [unrolled: 1-line block ×4, first 2 shown]
	s_barrier_wait -1
	global_inv scope:SCOPE_SE
	ds_store_b128 v66, v[0:3]
	ds_store_b128 v66, v[32:35] offset:384
	ds_store_b128 v66, v[36:39] offset:768
	ds_store_b128 v67, v[4:7]
	ds_store_b128 v67, v[40:43] offset:384
	ds_store_b128 v67, v[44:47] offset:768
	;; [unrolled: 3-line block ×8, first 2 shown]
	v_add_co_u32 v0, s0, s4, v203
	global_wb scope:SCOPE_SE
	s_wait_dscnt 0x0
	s_barrier_signal -1
	s_barrier_wait -1
	global_inv scope:SCOPE_SE
	global_load_b128 v[67:70], v[110:111], off offset:1120
	s_wait_alu 0xf1ff
	v_add_co_ci_u32_e64 v1, s0, s5, v204, s0
	global_load_b128 v[72:75], v[110:111], off offset:1136
	v_mul_lo_u16 v2, 0x48, v83
	v_mul_lo_u16 v4, 0x48, v82
	s_clause 0x1
	global_load_b128 v[48:51], v[0:1], off offset:1136
	global_load_b128 v[76:79], v[0:1], off offset:1120
	v_lshrrev_b32_e32 v65, 22, v217
	v_sub_nc_u16 v2, v127, v2
	v_lshrrev_b32_e32 v3, 22, v218
	v_mul_lo_u16 v5, 0x48, v81
	v_mul_lo_u16 v6, 0x48, v71
	v_sub_nc_u16 v4, v126, v4
	v_and_b32_e32 v66, 0xff, v2
	v_mul_lo_u16 v7, 0x48, v65
	v_mul_lo_u16 v2, 0x48, v3
	v_sub_nc_u16 v3, v125, v5
	v_sub_nc_u16 v5, v124, v6
	v_and_b32_e32 v61, 0xff, v4
	v_lshlrev_b32_e32 v4, 5, v66
	v_sub_nc_u16 v6, v123, v7
	v_and_b32_e32 v62, 0xffff, v3
	v_and_b32_e32 v63, 0xffff, v5
	v_sub_nc_u16 v2, v122, v2
	global_load_b128 v[16:19], v4, s[4:5] offset:1136
	v_lshlrev_b32_e32 v0, 5, v61
	global_load_b128 v[20:23], v4, s[4:5] offset:1120
	v_lshlrev_b32_e32 v1, 5, v62
	v_and_b32_e32 v64, 0xffff, v6
	v_and_b32_e32 v60, 0xffff, v2
	s_clause 0x1
	global_load_b128 v[28:31], v0, s[4:5] offset:1120
	global_load_b128 v[24:27], v0, s[4:5] offset:1136
	v_lshlrev_b32_e32 v0, 5, v63
	s_clause 0x1
	global_load_b128 v[36:39], v1, s[4:5] offset:1120
	global_load_b128 v[32:35], v1, s[4:5] offset:1136
	v_lshlrev_b32_e32 v128, 4, v89
	v_cmp_lt_u32_e64 s0, 8, v112
	global_load_b128 v[44:47], v0, s[4:5] offset:1120
	v_lshlrev_b32_e32 v1, 5, v64
	s_clause 0x1
	global_load_b128 v[40:43], v0, s[4:5] offset:1136
	global_load_b128 v[12:15], v1, s[4:5] offset:1120
	v_lshlrev_b32_e32 v0, 5, v60
	s_clause 0x2
	global_load_b128 v[8:11], v1, s[4:5] offset:1136
	global_load_b128 v[52:55], v0, s[4:5] offset:1120
	;; [unrolled: 1-line block ×3, first 2 shown]
	ds_load_b128 v[90:93], v86
	ds_load_b128 v[94:97], v130 offset:16128
	ds_load_b128 v[98:101], v130 offset:9072
	ds_load_b128 v[0:3], v85
	ds_load_b128 v[85:88], v130 offset:17136
	ds_load_b128 v[102:105], v130 offset:10080
	;; [unrolled: 1-line block ×6, first 2 shown]
	ds_load_b128 v[4:7], v130
	ds_load_b128 v[159:162], v130 offset:20160
	ds_load_b128 v[163:166], v130 offset:13104
	;; [unrolled: 1-line block ×7, first 2 shown]
	s_wait_alu 0xf1ff
	v_cndmask_b32_e64 v80, 0, 0xd80, s0
	v_mul_u32_u24_e32 v209, 0xd80, v81
	v_mul_u32_u24_e32 v211, 0xd80, v65
	v_lshlrev_b32_e32 v214, 4, v66
	v_mul_u32_u24_e32 v210, 0xd80, v71
	v_add3_u32 v128, 0, v80, v128
	v_lshlrev_b32_e32 v61, 4, v61
	v_lshlrev_b32_e32 v62, 4, v62
	;; [unrolled: 1-line block ×4, first 2 shown]
	v_lshl_add_u32 v60, v60, 4, 0
	v_cmp_gt_u32_e64 s0, 27, v112
	v_add3_u32 v62, 0, v209, v62
	v_add3_u32 v63, 0, v210, v63
	;; [unrolled: 1-line block ×3, first 2 shown]
	s_wait_loadcnt_dscnt 0xf11
	v_mul_f64_e32 v[110:111], v[92:93], v[69:70]
	v_mul_f64_e32 v[69:70], v[90:91], v[69:70]
	s_wait_loadcnt_dscnt 0xe10
	v_mul_f64_e32 v[187:188], v[96:97], v[74:75]
	v_mul_f64_e32 v[74:75], v[94:95], v[74:75]
	s_wait_loadcnt_dscnt 0xd0d
	v_mul_f64_e32 v[191:192], v[87:88], v[50:51]
	s_wait_loadcnt 0xc
	v_mul_f64_e32 v[189:190], v[100:101], v[78:79]
	v_mul_f64_e32 v[78:79], v[98:99], v[78:79]
	;; [unrolled: 1-line block ×3, first 2 shown]
	s_wait_loadcnt_dscnt 0xb0a
	v_mul_f64_e32 v[195:196], v[149:150], v[18:19]
	v_mul_f64_e32 v[18:19], v[147:148], v[18:19]
	s_wait_loadcnt 0xa
	v_mul_f64_e32 v[193:194], v[104:105], v[22:23]
	v_mul_f64_e32 v[22:23], v[102:103], v[22:23]
	s_wait_loadcnt 0x9
	v_mul_f64_e32 v[197:198], v[108:109], v[30:31]
	v_mul_f64_e32 v[30:31], v[106:107], v[30:31]
	s_wait_loadcnt_dscnt 0x809
	v_mul_f64_e32 v[199:200], v[153:154], v[26:27]
	v_mul_f64_e32 v[26:27], v[151:152], v[26:27]
	s_wait_loadcnt_dscnt 0x708
	;; [unrolled: 3-line block ×3, first 2 shown]
	v_mul_f64_e32 v[203:204], v[161:162], v[34:35]
	v_mul_f64_e32 v[34:35], v[159:160], v[34:35]
	v_fma_f64 v[89:90], v[90:91], v[67:68], v[110:111]
	v_fma_f64 v[69:70], v[92:93], v[67:68], -v[69:70]
	s_wait_loadcnt_dscnt 0x505
	v_mul_f64_e32 v[91:92], v[165:166], v[46:47]
	v_mul_f64_e32 v[110:111], v[163:164], v[46:47]
	s_wait_loadcnt_dscnt 0x404
	v_mul_f64_e32 v[205:206], v[169:170], v[42:43]
	v_mul_f64_e32 v[42:43], v[167:168], v[42:43]
	v_fma_f64 v[93:94], v[94:95], v[72:73], v[187:188]
	v_fma_f64 v[72:73], v[96:97], v[72:73], -v[74:75]
	s_wait_loadcnt_dscnt 0x303
	v_mul_f64_e32 v[74:75], v[173:174], v[14:15]
	v_mul_f64_e32 v[14:15], v[171:172], v[14:15]
	s_wait_loadcnt_dscnt 0x201
	v_mul_f64_e32 v[95:96], v[181:182], v[10:11]
	v_mul_f64_e32 v[10:11], v[179:180], v[10:11]
	v_fma_f64 v[97:98], v[98:99], v[76:77], v[189:190]
	v_fma_f64 v[76:77], v[100:101], v[76:77], -v[78:79]
	s_wait_loadcnt 0x1
	v_mul_f64_e32 v[78:79], v[177:178], v[54:55]
	v_mul_f64_e32 v[54:55], v[175:176], v[54:55]
	s_wait_loadcnt_dscnt 0x0
	v_mul_f64_e32 v[99:100], v[185:186], v[58:59]
	v_mul_f64_e32 v[58:59], v[183:184], v[58:59]
	v_fma_f64 v[80:81], v[85:86], v[48:49], v[191:192]
	v_fma_f64 v[50:51], v[87:88], v[48:49], -v[50:51]
	v_and_b32_e32 v46, 0xffff, v83
	v_and_b32_e32 v47, 0xffff, v82
	v_fma_f64 v[87:88], v[147:148], v[16:17], v[195:196]
	s_delay_alu instid0(VALU_DEP_3)
	v_mul_u32_u24_e32 v212, 0xd80, v46
	v_fma_f64 v[82:83], v[102:103], v[20:21], v[193:194]
	v_fma_f64 v[85:86], v[104:105], v[20:21], -v[22:23]
	v_fma_f64 v[101:102], v[149:150], v[16:17], -v[18:19]
	v_mul_u32_u24_e32 v213, 0xd80, v47
	v_fma_f64 v[103:104], v[106:107], v[28:29], v[197:198]
	v_fma_f64 v[28:29], v[108:109], v[28:29], -v[30:31]
	v_fma_f64 v[30:31], v[151:152], v[24:25], v[199:200]
	v_fma_f64 v[105:106], v[153:154], v[24:25], -v[26:27]
	;; [unrolled: 2-line block ×4, first 2 shown]
	ds_load_b128 v[46:49], v141
	ds_load_b128 v[65:68], v140
	v_add_f64_e32 v[107:108], v[6:7], v[69:70]
	v_fma_f64 v[34:35], v[163:164], v[44:45], v[91:92]
	v_fma_f64 v[38:39], v[165:166], v[44:45], -v[110:111]
	v_fma_f64 v[44:45], v[167:168], v[40:41], v[205:206]
	v_fma_f64 v[40:41], v[169:170], v[40:41], -v[42:43]
	v_add_f64_e32 v[109:110], v[4:5], v[89:90]
	v_add3_u32 v61, 0, v213, v61
	v_fma_f64 v[42:43], v[171:172], v[12:13], v[74:75]
	v_fma_f64 v[74:75], v[173:174], v[12:13], -v[14:15]
	v_fma_f64 v[91:92], v[179:180], v[8:9], v[95:96]
	v_fma_f64 v[95:96], v[181:182], v[8:9], -v[10:11]
	ds_load_b128 v[8:11], v84
	ds_load_b128 v[12:15], v137
	;; [unrolled: 1-line block ×4, first 2 shown]
	global_wb scope:SCOPE_SE
	s_wait_dscnt 0x0
	v_fma_f64 v[78:79], v[175:176], v[52:53], v[78:79]
	v_fma_f64 v[52:53], v[177:178], v[52:53], -v[54:55]
	v_fma_f64 v[54:55], v[183:184], v[56:57], v[99:100]
	v_fma_f64 v[56:57], v[185:186], v[56:57], -v[58:59]
	v_add_f64_e32 v[58:59], v[89:90], v[93:94]
	v_add_f64_e32 v[99:100], v[69:70], v[72:73]
	;; [unrolled: 1-line block ×6, first 2 shown]
	v_add_f64_e64 v[69:70], v[69:70], -v[72:73]
	v_add_f64_e64 v[89:90], v[89:90], -v[93:94]
	v_add_f64_e32 v[155:156], v[82:83], v[87:88]
	v_add_f64_e32 v[159:160], v[67:68], v[85:86]
	;; [unrolled: 1-line block ×3, first 2 shown]
	v_add_f64_e64 v[76:77], v[76:77], -v[50:51]
	v_add_f64_e64 v[97:98], v[97:98], -v[80:81]
	v_add_f64_e32 v[169:170], v[18:19], v[28:29]
	v_add_f64_e32 v[163:164], v[103:104], v[30:31]
	v_add_f64_e32 v[165:166], v[28:29], v[105:106]
	v_add_f64_e64 v[177:178], v[28:29], -v[105:106]
	v_add_f64_e32 v[173:174], v[16:17], v[103:104]
	v_add_f64_e32 v[167:168], v[24:25], v[36:37]
	;; [unrolled: 1-line block ×9, first 2 shown]
	v_add_f64_e64 v[84:85], v[85:86], -v[101:102]
	v_add_f64_e64 v[82:83], v[82:83], -v[87:88]
	;; [unrolled: 1-line block ×3, first 2 shown]
	v_add_f64_e32 v[199:200], v[10:11], v[74:75]
	v_add_f64_e32 v[179:180], v[42:43], v[91:92]
	;; [unrolled: 1-line block ×3, first 2 shown]
	v_add_f64_e64 v[189:190], v[26:27], -v[32:33]
	v_add_f64_e32 v[26:27], v[107:108], v[72:73]
	v_add_f64_e32 v[205:206], v[0:1], v[78:79]
	;; [unrolled: 1-line block ×5, first 2 shown]
	v_fma_f64 v[4:5], v[58:59], -0.5, v[4:5]
	v_fma_f64 v[6:7], v[99:100], -0.5, v[6:7]
	;; [unrolled: 1-line block ×3, first 2 shown]
	v_add_f64_e64 v[147:148], v[74:75], -v[95:96]
	v_fma_f64 v[74:75], v[149:150], -0.5, v[48:49]
	v_add_f64_e32 v[185:186], v[20:21], v[24:25]
	v_add_f64_e64 v[193:194], v[24:25], -v[36:37]
	v_add_f64_e32 v[24:25], v[109:110], v[93:94]
	v_fma_f64 v[65:66], v[155:156], -0.5, v[65:66]
	v_add_f64_e64 v[207:208], v[38:39], -v[40:41]
	v_fma_f64 v[67:68], v[157:158], -0.5, v[67:68]
	v_add_f64_e64 v[157:158], v[78:79], -v[54:55]
	v_add_f64_e64 v[99:100], v[34:35], -v[44:45]
	v_add_f64_e32 v[201:202], v[8:9], v[42:43]
	v_fma_f64 v[78:79], v[163:164], -0.5, v[16:17]
	v_fma_f64 v[107:108], v[165:166], -0.5, v[18:19]
	v_add_f64_e32 v[18:19], v[151:152], v[50:51]
	v_add_f64_e64 v[149:150], v[42:43], -v[91:92]
	v_fma_f64 v[93:94], v[167:168], -0.5, v[20:21]
	v_fma_f64 v[109:110], v[171:172], -0.5, v[22:23]
	v_add_f64_e32 v[22:23], v[159:160], v[101:102]
	v_add_f64_e64 v[155:156], v[52:53], -v[56:57]
	v_add_f64_e32 v[16:17], v[153:154], v[80:81]
	v_add_f64_e32 v[34:35], v[195:196], v[40:41]
	v_fma_f64 v[151:152], v[175:176], -0.5, v[12:13]
	v_fma_f64 v[101:102], v[28:29], -0.5, v[14:15]
	v_add_f64_e32 v[14:15], v[169:170], v[105:106]
	v_add_f64_e32 v[12:13], v[173:174], v[30:31]
	;; [unrolled: 1-line block ×4, first 2 shown]
	v_fma_f64 v[8:9], v[179:180], -0.5, v[8:9]
	v_fma_f64 v[10:11], v[183:184], -0.5, v[10:11]
	v_add_f64_e32 v[20:21], v[161:162], v[87:88]
	v_add_f64_e32 v[38:39], v[199:200], v[95:96]
	s_barrier_signal -1
	s_barrier_wait -1
	v_fma_f64 v[105:106], v[187:188], -0.5, v[0:1]
	v_fma_f64 v[153:154], v[191:192], -0.5, v[2:3]
	v_fma_f64 v[40:41], v[69:70], s[2:3], v[4:5]
	v_fma_f64 v[42:43], v[89:90], s[6:7], v[6:7]
	;; [unrolled: 1-line block ×6, first 2 shown]
	v_add_f64_e32 v[0:1], v[205:206], v[54:55]
	v_fma_f64 v[52:53], v[76:77], s[6:7], v[58:59]
	v_fma_f64 v[54:55], v[97:98], s[2:3], v[74:75]
	v_add_f64_e32 v[2:3], v[203:204], v[56:57]
	v_fma_f64 v[56:57], v[84:85], s[2:3], v[65:66]
	v_fma_f64 v[58:59], v[82:83], s[6:7], v[67:68]
	;; [unrolled: 1-line block ×8, first 2 shown]
	v_add_f64_e32 v[28:29], v[185:186], v[36:37]
	v_fma_f64 v[77:78], v[189:190], s[2:3], v[93:94]
	v_fma_f64 v[79:80], v[193:194], s[6:7], v[109:110]
	;; [unrolled: 1-line block ×4, first 2 shown]
	v_add_f64_e32 v[36:37], v[201:202], v[91:92]
	v_fma_f64 v[85:86], v[207:208], s[2:3], v[151:152]
	v_fma_f64 v[87:88], v[99:100], s[6:7], v[101:102]
	v_fma_f64 v[89:90], v[207:208], s[6:7], v[151:152]
	v_fma_f64 v[91:92], v[99:100], s[2:3], v[101:102]
	v_add3_u32 v101, 0, v212, v214
	global_inv scope:SCOPE_SE
	v_fma_f64 v[93:94], v[147:148], s[2:3], v[8:9]
	v_fma_f64 v[95:96], v[149:150], s[6:7], v[10:11]
	;; [unrolled: 1-line block ×8, first 2 shown]
	ds_store_b128 v130, v[24:27]
	ds_store_b128 v130, v[40:43] offset:1152
	ds_store_b128 v130, v[44:47] offset:2304
	ds_store_b128 v128, v[16:19]
	ds_store_b128 v128, v[48:51] offset:1152
	ds_store_b128 v128, v[52:55] offset:2304
	;; [unrolled: 3-line block ×7, first 2 shown]
	ds_store_b128 v60, v[0:3] offset:20736
	ds_store_b128 v60, v[4:7] offset:21888
	;; [unrolled: 1-line block ×3, first 2 shown]
	global_wb scope:SCOPE_SE
	s_wait_dscnt 0x0
	s_barrier_signal -1
	s_barrier_wait -1
	global_inv scope:SCOPE_SE
	ds_load_b128 v[32:35], v130
	ds_load_b128 v[100:103], v130 offset:3456
	ds_load_b128 v[96:99], v130 offset:6912
	;; [unrolled: 1-line block ×7, first 2 shown]
	ds_load_b128 v[28:31], v140
	ds_load_b128 v[88:91], v130 offset:4464
	ds_load_b128 v[60:63], v130 offset:5472
	;; [unrolled: 1-line block ×10, first 2 shown]
	ds_load_b128 v[36:39], v141
	ds_load_b128 v[84:87], v130 offset:22752
                                        ; implicit-def: $vgpr26_vgpr27
                                        ; implicit-def: $vgpr22_vgpr23
                                        ; implicit-def: $vgpr18_vgpr19
                                        ; implicit-def: $vgpr14_vgpr15
	s_and_saveexec_b32 s1, s0
	s_cbranch_execz .LBB0_15
; %bb.14:
	ds_load_b128 v[0:3], v139
	ds_load_b128 v[4:7], v130 offset:6480
	ds_load_b128 v[8:11], v130 offset:9936
	;; [unrolled: 1-line block ×6, first 2 shown]
.LBB0_15:
	s_wait_alu 0xfffe
	s_or_b32 exec_lo, exec_lo, s1
	v_mul_i32_i24_e32 v128, 6, v114
	v_mul_u32_u24_e32 v147, 6, v112
	s_mov_b32 s10, 0x37e14327
	s_mov_b32 s2, 0x36b3c0b5
	;; [unrolled: 1-line block ×3, first 2 shown]
	v_lshlrev_b64_e32 v[163:164], 4, v[128:129]
	v_lshlrev_b32_e32 v183, 4, v147
	v_mul_i32_i24_e32 v128, 6, v127
	s_mov_b32 s11, 0x3fe948f6
	s_mov_b32 s3, 0x3fac98ee
	s_clause 0x3
	global_load_b128 v[147:150], v183, s[4:5] offset:3424
	global_load_b128 v[151:154], v183, s[4:5] offset:3440
	;; [unrolled: 1-line block ×4, first 2 shown]
	v_add_co_u32 v207, s1, s4, v163
	s_wait_alu 0xf1ff
	v_add_co_ci_u32_e64 v208, s1, s5, v164, s1
	v_lshlrev_b64_e32 v[128:129], 4, v[128:129]
	s_mov_b32 s15, 0x3fe11646
	s_clause 0x3
	global_load_b128 v[163:166], v[207:208], off offset:3424
	global_load_b128 v[167:170], v[207:208], off offset:3440
	;; [unrolled: 1-line block ×4, first 2 shown]
	s_mov_b32 s6, 0x429ad128
	s_mov_b32 s7, 0xbfebfeb5
	v_add_co_u32 v128, s1, s4, v128
	s_wait_alu 0xf1ff
	v_add_co_ci_u32_e64 v129, s1, s5, v129, s1
	s_clause 0x9
	global_load_b128 v[179:182], v183, s[4:5] offset:3456
	global_load_b128 v[183:186], v183, s[4:5] offset:3472
	global_load_b128 v[187:190], v[128:129], off offset:3424
	global_load_b128 v[191:194], v[128:129], off offset:3440
	;; [unrolled: 1-line block ×8, first 2 shown]
	s_mov_b32 s12, 0xaaaaaaaa
	s_mov_b32 s16, 0x5476071b
	;; [unrolled: 1-line block ×9, first 2 shown]
	s_wait_alu 0xfffe
	s_mov_b32 s22, s20
	s_mov_b32 s24, 0x37c3f68c
	;; [unrolled: 1-line block ×3, first 2 shown]
	global_wb scope:SCOPE_SE
	s_wait_loadcnt_dscnt 0x0
	s_barrier_signal -1
	s_barrier_wait -1
	global_inv scope:SCOPE_SE
	v_mul_f64_e32 v[128:129], v[102:103], v[149:150]
	v_mul_f64_e32 v[149:150], v[100:101], v[149:150]
	;; [unrolled: 1-line block ×32, first 2 shown]
	v_fma_f64 v[100:101], v[100:101], v[147:148], v[128:129]
	v_fma_f64 v[102:103], v[102:103], v[147:148], -v[149:150]
	v_fma_f64 v[96:97], v[96:97], v[151:152], v[219:220]
	v_fma_f64 v[98:99], v[98:99], v[151:152], -v[153:154]
	;; [unrolled: 2-line block ×4, first 2 shown]
	v_mul_f64_e32 v[128:129], v[42:43], v[213:214]
	v_mul_f64_e32 v[147:148], v[40:41], v[213:214]
	;; [unrolled: 1-line block ×4, first 2 shown]
	v_fma_f64 v[88:89], v[88:89], v[163:164], v[225:226]
	v_fma_f64 v[90:91], v[90:91], v[163:164], -v[165:166]
	v_fma_f64 v[72:73], v[72:73], v[167:168], v[227:228]
	v_fma_f64 v[74:75], v[74:75], v[167:168], -v[169:170]
	;; [unrolled: 2-line block ×8, first 2 shown]
	v_fma_f64 v[68:69], v[68:69], v[195:196], v[241:242]
	v_fma_f64 v[84:85], v[84:85], v[199:200], v[243:244]
	v_fma_f64 v[86:87], v[86:87], v[199:200], -v[201:202]
	v_fma_f64 v[70:71], v[70:71], v[195:196], -v[197:198]
	v_fma_f64 v[52:53], v[52:53], v[203:204], v[245:246]
	v_fma_f64 v[48:49], v[48:49], v[207:208], v[247:248]
	v_fma_f64 v[54:55], v[54:55], v[203:204], -v[205:206]
	v_fma_f64 v[50:51], v[50:51], v[207:208], -v[209:210]
	v_add_f64_e32 v[153:154], v[100:101], v[104:105]
	v_add_f64_e32 v[155:156], v[102:103], v[106:107]
	;; [unrolled: 1-line block ×4, first 2 shown]
	v_fma_f64 v[40:41], v[40:41], v[211:212], v[128:129]
	v_fma_f64 v[42:43], v[42:43], v[211:212], -v[147:148]
	v_fma_f64 v[44:45], v[44:45], v[215:216], v[149:150]
	v_fma_f64 v[46:47], v[46:47], v[215:216], -v[151:152]
	v_add_f64_e64 v[96:97], v[96:97], -v[108:109]
	v_add_f64_e64 v[98:99], v[98:99], -v[110:111]
	v_add_f64_e64 v[100:101], v[100:101], -v[104:105]
	v_add_f64_e64 v[102:103], v[102:103], -v[106:107]
	v_add_f64_e32 v[128:129], v[88:89], v[80:81]
	v_add_f64_e32 v[147:148], v[90:91], v[82:83]
	;; [unrolled: 1-line block ×4, first 2 shown]
	v_add_f64_e64 v[72:73], v[72:73], -v[92:93]
	v_add_f64_e64 v[74:75], v[74:75], -v[94:95]
	v_add_f64_e32 v[108:109], v[76:77], v[56:57]
	v_add_f64_e32 v[161:162], v[78:79], v[58:59]
	v_add_f64_e64 v[56:57], v[56:57], -v[76:77]
	v_add_f64_e64 v[58:59], v[58:59], -v[78:79]
	v_add_f64_e32 v[110:111], v[64:65], v[68:69]
	v_add_f64_e32 v[76:77], v[60:61], v[84:85]
	;; [unrolled: 1-line block ×4, first 2 shown]
	v_add_f64_e64 v[64:65], v[64:65], -v[68:69]
	v_add_f64_e32 v[104:105], v[52:53], v[48:49]
	v_add_f64_e64 v[48:49], v[48:49], -v[52:53]
	v_add_f64_e32 v[106:107], v[54:55], v[50:51]
	v_add_f64_e64 v[50:51], v[50:51], -v[54:55]
	v_add_f64_e64 v[54:55], v[88:89], -v[80:81]
	;; [unrolled: 1-line block ×6, first 2 shown]
	v_add_f64_e32 v[52:53], v[157:158], v[153:154]
	v_add_f64_e32 v[92:93], v[159:160], v[155:156]
	v_add_f64_e64 v[84:85], v[159:160], -v[155:156]
	v_add_f64_e32 v[68:69], v[40:41], v[44:45]
	v_add_f64_e64 v[40:41], v[44:45], -v[40:41]
	;; [unrolled: 2-line block ×3, first 2 shown]
	v_add_f64_e64 v[46:47], v[157:158], -v[153:154]
	v_add_f64_e32 v[44:45], v[149:150], v[128:129]
	v_add_f64_e32 v[82:83], v[151:152], v[147:148]
	v_add_f64_e64 v[169:170], v[149:150], -v[128:129]
	v_add_f64_e64 v[171:172], v[151:152], -v[147:148]
	;; [unrolled: 1-line block ×8, first 2 shown]
	v_add_f64_e32 v[153:154], v[56:57], v[96:97]
	v_add_f64_e32 v[159:160], v[110:111], v[76:77]
	;; [unrolled: 1-line block ×4, first 2 shown]
	v_add_f64_e64 v[96:97], v[96:97], -v[100:101]
	v_add_f64_e64 v[98:99], v[98:99], -v[102:103]
	;; [unrolled: 1-line block ×4, first 2 shown]
	v_add_f64_e32 v[173:174], v[48:49], v[72:73]
	v_add_f64_e64 v[175:176], v[50:51], -v[74:75]
	v_add_f64_e64 v[149:150], v[104:105], -v[149:150]
	;; [unrolled: 1-line block ×7, first 2 shown]
	v_add_f64_e32 v[52:53], v[108:109], v[52:53]
	v_add_f64_e32 v[92:93], v[161:162], v[92:93]
	v_add_f64_e64 v[161:162], v[48:49], -v[72:73]
	v_add_f64_e32 v[108:109], v[50:51], v[74:75]
	v_add_f64_e64 v[72:73], v[72:73], -v[54:55]
	v_add_f64_e64 v[74:75], v[74:75], -v[80:81]
	v_add_f64_e32 v[181:182], v[40:41], v[64:65]
	v_add_f64_e64 v[76:77], v[76:77], -v[68:69]
	v_add_f64_e64 v[78:79], v[78:79], -v[70:71]
	;; [unrolled: 1-line block ×5, first 2 shown]
	v_add_f64_e32 v[44:45], v[104:105], v[44:45]
	v_add_f64_e32 v[82:83], v[106:107], v[82:83]
	v_add_f64_e64 v[106:107], v[68:69], -v[110:111]
	v_add_f64_e64 v[110:111], v[40:41], -v[64:65]
	v_add_f64_e32 v[104:105], v[42:43], v[66:67]
	v_add_f64_e64 v[64:65], v[64:65], -v[60:61]
	v_add_f64_e64 v[66:67], v[66:67], -v[62:63]
	v_mul_f64_e32 v[86:87], s[10:11], v[86:87]
	v_mul_f64_e32 v[88:89], s[10:11], v[88:89]
	;; [unrolled: 1-line block ×4, first 2 shown]
	v_add_f64_e32 v[68:69], v[68:69], v[159:160]
	v_mul_f64_e32 v[159:160], s[2:3], v[90:91]
	v_add_f64_e32 v[70:71], v[70:71], v[165:166]
	v_mul_f64_e32 v[165:166], s[2:3], v[94:95]
	v_add_f64_e32 v[100:101], v[153:154], v[100:101]
	v_add_f64_e32 v[102:103], v[155:156], v[102:103]
	v_mul_f64_e32 v[153:154], s[6:7], v[96:97]
	v_mul_f64_e32 v[155:156], s[6:7], v[98:99]
	v_add_f64_e64 v[50:51], v[80:81], -v[50:51]
	v_mul_f64_e32 v[128:129], s[10:11], v[128:129]
	v_mul_f64_e32 v[147:148], s[10:11], v[147:148]
	v_add_f64_e32 v[54:55], v[173:174], v[54:55]
	v_mul_f64_e32 v[173:174], s[14:15], v[175:176]
	v_mul_f64_e32 v[185:186], s[2:3], v[149:150]
	;; [unrolled: 1-line block ×3, first 2 shown]
	v_add_f64_e32 v[32:33], v[32:33], v[52:53]
	v_add_f64_e32 v[34:35], v[34:35], v[92:93]
	v_mul_f64_e32 v[161:162], s[14:15], v[161:162]
	v_add_f64_e32 v[80:81], v[108:109], v[80:81]
	v_mul_f64_e32 v[108:109], s[6:7], v[72:73]
	v_mul_f64_e32 v[175:176], s[6:7], v[74:75]
	v_add_f64_e64 v[40:41], v[60:61], -v[40:41]
	v_add_f64_e64 v[42:43], v[62:63], -v[42:43]
	v_add_f64_e32 v[60:61], v[181:182], v[60:61]
	v_mul_f64_e32 v[76:77], s[10:11], v[76:77]
	v_mul_f64_e32 v[78:79], s[10:11], v[78:79]
	;; [unrolled: 1-line block ×3, first 2 shown]
	v_add_f64_e32 v[36:37], v[36:37], v[44:45]
	v_add_f64_e32 v[38:39], v[38:39], v[82:83]
	v_mul_f64_e32 v[183:184], s[2:3], v[163:164]
	v_mul_f64_e32 v[110:111], s[14:15], v[110:111]
	v_add_f64_e32 v[62:63], v[104:105], v[62:63]
	v_mul_f64_e32 v[189:190], s[6:7], v[64:65]
	v_mul_f64_e32 v[191:192], s[6:7], v[66:67]
	;; [unrolled: 1-line block ×3, first 2 shown]
	v_fma_f64 v[90:91], v[90:91], s[2:3], v[86:87]
	v_fma_f64 v[94:95], v[94:95], s[2:3], v[88:89]
	v_fma_f64 v[96:97], v[96:97], s[6:7], -v[157:158]
	v_add_f64_e32 v[28:29], v[28:29], v[68:69]
	v_fma_f64 v[159:160], v[46:47], s[16:17], -v[159:160]
	v_add_f64_e32 v[30:31], v[30:31], v[70:71]
	v_fma_f64 v[165:166], v[84:85], s[16:17], -v[165:166]
	v_fma_f64 v[46:47], v[46:47], s[18:19], -v[86:87]
	;; [unrolled: 1-line block ×3, first 2 shown]
	v_fma_f64 v[86:87], v[56:57], s[20:21], v[157:158]
	v_fma_f64 v[88:89], v[58:59], s[20:21], v[167:168]
	s_wait_alu 0xfffe
	v_fma_f64 v[56:57], v[56:57], s[22:23], -v[153:154]
	v_fma_f64 v[58:59], v[58:59], s[22:23], -v[155:156]
	;; [unrolled: 1-line block ×3, first 2 shown]
	v_fma_f64 v[149:150], v[149:150], s[2:3], v[128:129]
	v_fma_f64 v[151:152], v[151:152], s[2:3], v[147:148]
	;; [unrolled: 1-line block ×3, first 2 shown]
	v_fma_f64 v[128:129], v[169:170], s[18:19], -v[128:129]
	v_fma_f64 v[52:53], v[52:53], s[12:13], v[32:33]
	v_fma_f64 v[92:93], v[92:93], s[12:13], v[34:35]
	;; [unrolled: 1-line block ×3, first 2 shown]
	v_fma_f64 v[74:75], v[74:75], s[6:7], -v[173:174]
	v_fma_f64 v[48:49], v[48:49], s[22:23], -v[108:109]
	;; [unrolled: 1-line block ×7, first 2 shown]
	v_fma_f64 v[106:107], v[106:107], s[2:3], v[76:77]
	v_fma_f64 v[147:148], v[163:164], s[2:3], v[78:79]
	v_fma_f64 v[44:45], v[44:45], s[12:13], v[36:37]
	v_fma_f64 v[82:83], v[82:83], s[12:13], v[38:39]
	v_fma_f64 v[163:164], v[42:43], s[20:21], v[181:182]
	v_fma_f64 v[161:162], v[40:41], s[20:21], v[110:111]
	v_fma_f64 v[76:77], v[177:178], s[18:19], -v[76:77]
	v_fma_f64 v[40:41], v[40:41], s[22:23], -v[189:190]
	v_fma_f64 v[42:43], v[42:43], s[22:23], -v[191:192]
	v_fma_f64 v[78:79], v[179:180], s[18:19], -v[78:79]
	v_fma_f64 v[104:105], v[177:178], s[16:17], -v[104:105]
	v_fma_f64 v[64:65], v[64:65], s[6:7], -v[110:111]
	v_fma_f64 v[66:67], v[66:67], s[6:7], -v[181:182]
	v_fma_f64 v[68:69], v[68:69], s[12:13], v[28:29]
	v_fma_f64 v[110:111], v[179:180], s[16:17], -v[183:184]
	v_fma_f64 v[70:71], v[70:71], s[12:13], v[30:31]
	v_fma_f64 v[96:97], v[100:101], s[24:25], v[96:97]
	;; [unrolled: 1-line block ×7, first 2 shown]
	v_add_f64_e32 v[90:91], v[90:91], v[52:53]
	v_add_f64_e32 v[94:95], v[94:95], v[92:93]
	;; [unrolled: 1-line block ×6, first 2 shown]
	v_fma_f64 v[102:103], v[54:55], s[24:25], v[157:158]
	v_fma_f64 v[157:158], v[80:81], s[24:25], v[167:168]
	;; [unrolled: 1-line block ×6, first 2 shown]
	v_add_f64_e32 v[149:150], v[149:150], v[44:45]
	v_add_f64_e32 v[151:152], v[151:152], v[82:83]
	v_add_f64_e32 v[128:129], v[128:129], v[44:45]
	v_add_f64_e32 v[108:109], v[108:109], v[82:83]
	v_add_f64_e32 v[153:154], v[153:154], v[44:45]
	v_add_f64_e32 v[82:83], v[155:156], v[82:83]
	v_fma_f64 v[155:156], v[60:61], s[24:25], v[161:162]
	v_fma_f64 v[161:162], v[62:63], s[24:25], v[163:164]
	;; [unrolled: 1-line block ×5, first 2 shown]
	v_add_f64_e32 v[175:176], v[106:107], v[68:69]
	v_add_f64_e32 v[106:107], v[76:77], v[68:69]
	;; [unrolled: 1-line block ×4, first 2 shown]
	v_fma_f64 v[169:170], v[62:63], s[24:25], v[66:67]
	v_add_f64_e32 v[104:105], v[104:105], v[68:69]
	v_add_f64_e32 v[110:111], v[110:111], v[70:71]
	;; [unrolled: 1-line block ×3, first 2 shown]
	v_add_f64_e64 v[42:43], v[94:95], -v[86:87]
	v_add_f64_e32 v[44:45], v[56:57], v[58:59]
	v_add_f64_e64 v[46:47], v[84:85], -v[100:101]
	v_add_f64_e64 v[48:49], v[52:53], -v[98:99]
	v_add_f64_e32 v[50:51], v[96:97], v[92:93]
	v_add_f64_e32 v[52:53], v[98:99], v[52:53]
	v_add_f64_e64 v[54:55], v[92:93], -v[96:97]
	v_add_f64_e64 v[56:57], v[58:59], -v[56:57]
	v_add_f64_e32 v[58:59], v[100:101], v[84:85]
	v_add_f64_e64 v[60:61], v[90:91], -v[88:89]
	v_add_f64_e32 v[62:63], v[86:87], v[94:95]
	v_add_f64_e32 v[64:65], v[157:158], v[149:150]
	v_add_f64_e64 v[66:67], v[151:152], -v[102:103]
	v_add_f64_e32 v[68:69], v[80:81], v[128:129]
	v_add_f64_e64 v[70:71], v[108:109], -v[167:168]
	v_add_f64_e64 v[72:73], v[153:154], -v[165:166]
	v_add_f64_e32 v[74:75], v[159:160], v[82:83]
	v_add_f64_e32 v[76:77], v[165:166], v[153:154]
	v_add_f64_e64 v[78:79], v[82:83], -v[159:160]
	v_add_f64_e64 v[80:81], v[128:129], -v[80:81]
	v_add_f64_e32 v[82:83], v[167:168], v[108:109]
	v_add_f64_e64 v[84:85], v[149:150], -v[157:158]
	v_add_f64_e32 v[86:87], v[102:103], v[151:152]
	v_add_f64_e32 v[88:89], v[161:162], v[175:176]
	v_add_f64_e64 v[90:91], v[147:148], -v[155:156]
	v_add_f64_e32 v[92:93], v[173:174], v[106:107]
	v_add_f64_e64 v[94:95], v[177:178], -v[171:172]
	v_add_f64_e64 v[96:97], v[104:105], -v[169:170]
	v_add_f64_e32 v[98:99], v[163:164], v[110:111]
	v_add_f64_e32 v[100:101], v[169:170], v[104:105]
	v_add_f64_e64 v[102:103], v[110:111], -v[163:164]
	v_add_f64_e64 v[104:105], v[106:107], -v[173:174]
	v_add_f64_e32 v[106:107], v[171:172], v[177:178]
	v_add_f64_e64 v[108:109], v[175:176], -v[161:162]
	v_add_f64_e32 v[110:111], v[155:156], v[147:148]
	ds_store_b128 v130, v[32:35]
	ds_store_b128 v130, v[40:43] offset:3456
	ds_store_b128 v130, v[44:47] offset:6912
	ds_store_b128 v130, v[48:51] offset:10368
	ds_store_b128 v130, v[52:55] offset:13824
	ds_store_b128 v130, v[56:59] offset:17280
	ds_store_b128 v130, v[60:63] offset:20736
	ds_store_b128 v141, v[36:39]
	ds_store_b128 v141, v[64:67] offset:3456
	ds_store_b128 v141, v[68:71] offset:6912
	ds_store_b128 v141, v[72:75] offset:10368
	ds_store_b128 v141, v[76:79] offset:13824
	ds_store_b128 v141, v[80:83] offset:17280
	ds_store_b128 v141, v[84:87] offset:20736
	;; [unrolled: 7-line block ×3, first 2 shown]
	s_and_saveexec_b32 s1, s0
	s_cbranch_execz .LBB0_17
; %bb.16:
	v_subrev_nc_u32_e32 v28, 27, v112
	v_mov_b32_e32 v29, 0
	s_delay_alu instid0(VALU_DEP_2) | instskip(NEXT) | instid1(VALU_DEP_1)
	v_cndmask_b32_e64 v28, v28, v126, s0
	v_mul_i32_i24_e32 v28, 6, v28
	s_delay_alu instid0(VALU_DEP_1) | instskip(NEXT) | instid1(VALU_DEP_1)
	v_lshlrev_b64_e32 v[28:29], 4, v[28:29]
	v_add_co_u32 v48, s0, s4, v28
	s_wait_alu 0xf1ff
	s_delay_alu instid0(VALU_DEP_2)
	v_add_co_ci_u32_e64 v49, s0, s5, v29, s0
	s_clause 0x5
	global_load_b128 v[28:31], v[48:49], off offset:3504
	global_load_b128 v[32:35], v[48:49], off offset:3424
	;; [unrolled: 1-line block ×6, first 2 shown]
	s_wait_loadcnt 0x5
	v_mul_f64_e32 v[52:53], v[24:25], v[30:31]
	s_wait_loadcnt 0x4
	v_mul_f64_e32 v[54:55], v[4:5], v[34:35]
	s_wait_loadcnt 0x3
	v_mul_f64_e32 v[56:57], v[20:21], v[38:39]
	s_wait_loadcnt 0x2
	v_mul_f64_e32 v[58:59], v[8:9], v[42:43]
	v_mul_f64_e32 v[34:35], v[6:7], v[34:35]
	v_mul_f64_e32 v[30:31], v[26:27], v[30:31]
	;; [unrolled: 1-line block ×4, first 2 shown]
	s_wait_loadcnt 0x1
	v_mul_f64_e32 v[60:61], v[18:19], v[46:47]
	s_wait_loadcnt 0x0
	v_mul_f64_e32 v[62:63], v[14:15], v[50:51]
	v_mul_f64_e32 v[50:51], v[12:13], v[50:51]
	;; [unrolled: 1-line block ×3, first 2 shown]
	v_fma_f64 v[26:27], v[26:27], v[28:29], -v[52:53]
	v_fma_f64 v[6:7], v[6:7], v[32:33], -v[54:55]
	;; [unrolled: 1-line block ×4, first 2 shown]
	v_fma_f64 v[4:5], v[4:5], v[32:33], v[34:35]
	v_fma_f64 v[24:25], v[24:25], v[28:29], v[30:31]
	;; [unrolled: 1-line block ×6, first 2 shown]
	v_fma_f64 v[14:15], v[14:15], v[48:49], -v[50:51]
	v_fma_f64 v[18:19], v[18:19], v[44:45], -v[46:47]
	v_add_f64_e32 v[28:29], v[6:7], v[26:27]
	v_add_f64_e64 v[6:7], v[6:7], -v[26:27]
	v_add_f64_e32 v[30:31], v[10:11], v[22:23]
	v_add_f64_e64 v[10:11], v[10:11], -v[22:23]
	;; [unrolled: 2-line block ×4, first 2 shown]
	v_add_f64_e64 v[36:37], v[16:17], -v[12:13]
	v_add_f64_e32 v[12:13], v[12:13], v[16:17]
	v_add_f64_e32 v[20:21], v[14:15], v[18:19]
	v_add_f64_e64 v[14:15], v[18:19], -v[14:15]
	v_add_f64_e32 v[16:17], v[30:31], v[28:29]
	v_add_f64_e64 v[42:43], v[10:11], -v[6:7]
	;; [unrolled: 2-line block ×3, first 2 shown]
	v_add_f64_e64 v[22:23], v[36:37], -v[8:9]
	v_add_f64_e64 v[26:27], v[32:33], -v[12:13]
	;; [unrolled: 1-line block ×5, first 2 shown]
	v_add_f64_e32 v[8:9], v[36:37], v[8:9]
	v_add_f64_e32 v[10:11], v[14:15], v[10:11]
	v_add_f64_e64 v[14:15], v[6:7], -v[14:15]
	v_add_f64_e64 v[28:29], v[30:31], -v[28:29]
	;; [unrolled: 1-line block ×3, first 2 shown]
	v_add_f64_e32 v[16:17], v[20:21], v[16:17]
	v_add_f64_e64 v[20:21], v[20:21], -v[30:31]
	v_mul_f64_e32 v[46:47], s[6:7], v[42:43]
	v_add_f64_e32 v[18:19], v[12:13], v[18:19]
	v_add_f64_e64 v[12:13], v[12:13], -v[34:35]
	v_mul_f64_e32 v[22:23], s[14:15], v[22:23]
	v_mul_f64_e32 v[26:27], s[10:11], v[26:27]
	;; [unrolled: 1-line block ×5, first 2 shown]
	v_add_f64_e32 v[4:5], v[8:9], v[4:5]
	v_add_f64_e32 v[6:7], v[10:11], v[6:7]
	;; [unrolled: 1-line block ×3, first 2 shown]
	v_mul_f64_e32 v[30:31], s[2:3], v[20:21]
	v_add_f64_e32 v[0:1], v[0:1], v[18:19]
	v_mul_f64_e32 v[34:35], s[2:3], v[12:13]
	v_fma_f64 v[8:9], v[44:45], s[20:21], v[22:23]
	v_fma_f64 v[12:13], v[12:13], s[2:3], v[26:27]
	v_fma_f64 v[10:11], v[20:21], s[2:3], v[24:25]
	v_fma_f64 v[20:21], v[44:45], s[22:23], -v[36:37]
	v_fma_f64 v[22:23], v[38:39], s[6:7], -v[22:23]
	;; [unrolled: 1-line block ×5, first 2 shown]
	v_fma_f64 v[16:17], v[16:17], s[12:13], v[2:3]
	v_fma_f64 v[28:29], v[28:29], s[16:17], -v[30:31]
	v_fma_f64 v[30:31], v[14:15], s[20:21], v[40:41]
	v_fma_f64 v[14:15], v[14:15], s[22:23], -v[46:47]
	;; [unrolled: 2-line block ×3, first 2 shown]
	v_fma_f64 v[8:9], v[4:5], s[24:25], v[8:9]
	v_fma_f64 v[20:21], v[4:5], s[24:25], v[20:21]
	;; [unrolled: 1-line block ×4, first 2 shown]
	v_add_f64_e32 v[34:35], v[10:11], v[16:17]
	v_add_f64_e32 v[22:23], v[24:25], v[16:17]
	;; [unrolled: 1-line block ×3, first 2 shown]
	v_fma_f64 v[28:29], v[6:7], s[24:25], v[30:31]
	v_add_f64_e32 v[38:39], v[12:13], v[18:19]
	v_fma_f64 v[30:31], v[6:7], s[24:25], v[14:15]
	v_add_f64_e32 v[40:41], v[26:27], v[18:19]
	v_add_f64_e32 v[12:13], v[32:33], v[18:19]
	v_add_f64_e64 v[26:27], v[34:35], -v[8:9]
	v_add_f64_e32 v[10:11], v[20:21], v[22:23]
	v_add_f64_e64 v[22:23], v[22:23], -v[20:21]
	v_add_f64_e64 v[14:15], v[16:17], -v[4:5]
	v_add_f64_e32 v[24:25], v[28:29], v[38:39]
	v_add_f64_e32 v[18:19], v[4:5], v[16:17]
	;; [unrolled: 1-line block ×3, first 2 shown]
	v_add_f64_e64 v[16:17], v[12:13], -v[36:37]
	v_add_f64_e32 v[12:13], v[36:37], v[12:13]
	v_add_f64_e32 v[6:7], v[8:9], v[34:35]
	v_add_f64_e64 v[8:9], v[40:41], -v[30:31]
	v_add_f64_e64 v[4:5], v[38:39], -v[28:29]
	ds_store_b128 v130, v[0:3] offset:3024
	ds_store_b128 v130, v[24:27] offset:6480
	;; [unrolled: 1-line block ×7, first 2 shown]
.LBB0_17:
	s_wait_alu 0xfffe
	s_or_b32 exec_lo, exec_lo, s1
	global_wb scope:SCOPE_SE
	s_wait_dscnt 0x0
	s_barrier_signal -1
	s_barrier_wait -1
	global_inv scope:SCOPE_SE
	ds_load_b128 v[4:7], v130
	v_sub_nc_u32_e32 v10, 0, v113
	s_mov_b32 s1, exec_lo
                                        ; implicit-def: $vgpr2_vgpr3
                                        ; implicit-def: $vgpr8_vgpr9
	v_cmpx_ne_u32_e32 0, v112
	s_wait_alu 0xfffe
	s_xor_b32 s1, exec_lo, s1
	s_cbranch_execz .LBB0_19
; %bb.18:
	v_mov_b32_e32 v113, 0
	s_delay_alu instid0(VALU_DEP_1) | instskip(NEXT) | instid1(VALU_DEP_1)
	v_lshlrev_b64_e32 v[0:1], 4, v[112:113]
	v_add_co_u32 v0, s0, s4, v0
	s_wait_alu 0xf1ff
	s_delay_alu instid0(VALU_DEP_2)
	v_add_co_ci_u32_e64 v1, s0, s5, v1, s0
	global_load_b128 v[11:14], v[0:1], off offset:24160
	ds_load_b128 v[0:3], v10 offset:24192
	s_wait_dscnt 0x0
	v_add_f64_e64 v[8:9], v[4:5], -v[0:1]
	v_add_f64_e32 v[15:16], v[6:7], v[2:3]
	v_add_f64_e64 v[2:3], v[6:7], -v[2:3]
	v_add_f64_e32 v[0:1], v[4:5], v[0:1]
	s_delay_alu instid0(VALU_DEP_4) | instskip(NEXT) | instid1(VALU_DEP_4)
	v_mul_f64_e32 v[6:7], 0.5, v[8:9]
	v_mul_f64_e32 v[4:5], 0.5, v[15:16]
	s_delay_alu instid0(VALU_DEP_4) | instskip(SKIP_1) | instid1(VALU_DEP_3)
	v_mul_f64_e32 v[2:3], 0.5, v[2:3]
	s_wait_loadcnt 0x0
	v_mul_f64_e32 v[8:9], v[6:7], v[13:14]
	s_delay_alu instid0(VALU_DEP_2) | instskip(SKIP_1) | instid1(VALU_DEP_3)
	v_fma_f64 v[15:16], v[4:5], v[13:14], v[2:3]
	v_fma_f64 v[2:3], v[4:5], v[13:14], -v[2:3]
	v_fma_f64 v[17:18], v[0:1], 0.5, v[8:9]
	v_fma_f64 v[0:1], v[0:1], 0.5, -v[8:9]
	s_delay_alu instid0(VALU_DEP_4) | instskip(NEXT) | instid1(VALU_DEP_4)
	v_fma_f64 v[8:9], -v[11:12], v[6:7], v[15:16]
	v_fma_f64 v[2:3], -v[11:12], v[6:7], v[2:3]
	s_delay_alu instid0(VALU_DEP_4) | instskip(NEXT) | instid1(VALU_DEP_4)
	v_fma_f64 v[13:14], v[4:5], v[11:12], v[17:18]
	v_fma_f64 v[0:1], -v[4:5], v[11:12], v[0:1]
                                        ; implicit-def: $vgpr4_vgpr5
	ds_store_b64 v130, v[13:14]
.LBB0_19:
	s_wait_alu 0xfffe
	s_or_saveexec_b32 s0, s1
	v_sub_nc_u32_e32 v16, 0, v115
	v_sub_nc_u32_e32 v15, 0, v142
	;; [unrolled: 1-line block ×6, first 2 shown]
	s_wait_alu 0xfffe
	s_xor_b32 exec_lo, exec_lo, s0
	s_cbranch_execz .LBB0_21
; %bb.20:
	s_wait_dscnt 0x0
	v_add_f64_e32 v[17:18], v[4:5], v[6:7]
	v_add_f64_e64 v[0:1], v[4:5], -v[6:7]
	v_mov_b32_e32 v6, 0
	v_mov_b32_e32 v8, 0
	;; [unrolled: 1-line block ×3, first 2 shown]
	s_delay_alu instid0(VALU_DEP_2)
	v_mov_b32_e32 v2, v8
	ds_load_b64 v[4:5], v6 offset:12104
	v_mov_b32_e32 v3, v9
	s_wait_dscnt 0x0
	v_xor_b32_e32 v5, 0x80000000, v5
	ds_store_b64 v130, v[17:18]
	ds_store_b64 v6, v[4:5] offset:12104
.LBB0_21:
	s_or_b32 exec_lo, exec_lo, s0
	v_mov_b32_e32 v115, 0
	v_add_nc_u32_e32 v29, v136, v16
	v_add_nc_u32_e32 v15, v135, v15
	;; [unrolled: 1-line block ×3, first 2 shown]
	s_wait_dscnt 0x0
	v_lshlrev_b64_e32 v[4:5], 4, v[114:115]
	v_mov_b32_e32 v128, v115
	s_delay_alu instid0(VALU_DEP_1) | instskip(SKIP_1) | instid1(VALU_DEP_4)
	v_lshlrev_b64_e32 v[17:18], 4, v[127:128]
	v_mov_b32_e32 v127, v115
	v_add_co_u32 v4, s0, s4, v4
	s_wait_alu 0xf1ff
	v_add_co_ci_u32_e64 v5, s0, s5, v5, s0
	s_delay_alu instid0(VALU_DEP_4)
	v_add_co_u32 v17, s0, s4, v17
	s_wait_alu 0xf1ff
	v_add_co_ci_u32_e64 v18, s0, s5, v18, s0
	s_clause 0x1
	global_load_b128 v[4:7], v[4:5], off offset:24160
	global_load_b128 v[17:20], v[17:18], off offset:24160
	ds_store_b64 v130, v[8:9] offset:8
	ds_store_b128 v10, v[0:3] offset:24192
	ds_load_b128 v[0:3], v141
	ds_load_b128 v[21:24], v10 offset:23184
	s_wait_dscnt 0x0
	v_add_f64_e64 v[8:9], v[0:1], -v[21:22]
	v_add_f64_e32 v[25:26], v[2:3], v[23:24]
	v_add_f64_e64 v[2:3], v[2:3], -v[23:24]
	v_add_f64_e32 v[0:1], v[0:1], v[21:22]
	s_delay_alu instid0(VALU_DEP_4) | instskip(NEXT) | instid1(VALU_DEP_4)
	v_mul_f64_e32 v[8:9], 0.5, v[8:9]
	v_mul_f64_e32 v[23:24], 0.5, v[25:26]
	s_delay_alu instid0(VALU_DEP_4) | instskip(SKIP_1) | instid1(VALU_DEP_3)
	v_mul_f64_e32 v[2:3], 0.5, v[2:3]
	s_wait_loadcnt 0x1
	v_mul_f64_e32 v[21:22], v[8:9], v[6:7]
	s_delay_alu instid0(VALU_DEP_2) | instskip(SKIP_1) | instid1(VALU_DEP_3)
	v_fma_f64 v[25:26], v[23:24], v[6:7], v[2:3]
	v_fma_f64 v[6:7], v[23:24], v[6:7], -v[2:3]
	v_fma_f64 v[27:28], v[0:1], 0.5, v[21:22]
	v_fma_f64 v[21:22], v[0:1], 0.5, -v[21:22]
	s_delay_alu instid0(VALU_DEP_4) | instskip(NEXT) | instid1(VALU_DEP_4)
	v_fma_f64 v[2:3], -v[4:5], v[8:9], v[25:26]
	v_fma_f64 v[6:7], -v[4:5], v[8:9], v[6:7]
	v_lshlrev_b64_e32 v[8:9], 4, v[126:127]
	v_mov_b32_e32 v126, v115
	s_delay_alu instid0(VALU_DEP_2) | instskip(SKIP_1) | instid1(VALU_DEP_3)
	v_add_co_u32 v8, s0, s4, v8
	s_wait_alu 0xf1ff
	v_add_co_ci_u32_e64 v9, s0, s5, v9, s0
	v_fma_f64 v[0:1], v[23:24], v[4:5], v[27:28]
	v_fma_f64 v[4:5], -v[23:24], v[4:5], v[21:22]
	global_load_b128 v[21:24], v[8:9], off offset:24160
	ds_store_b128 v141, v[0:3]
	ds_store_b128 v10, v[4:7] offset:23184
	ds_load_b128 v[0:3], v140
	ds_load_b128 v[4:7], v10 offset:22176
	s_wait_dscnt 0x0
	v_add_f64_e64 v[8:9], v[0:1], -v[4:5]
	v_add_f64_e32 v[25:26], v[2:3], v[6:7]
	v_add_f64_e64 v[2:3], v[2:3], -v[6:7]
	v_add_f64_e32 v[0:1], v[0:1], v[4:5]
	s_delay_alu instid0(VALU_DEP_4) | instskip(NEXT) | instid1(VALU_DEP_4)
	v_mul_f64_e32 v[6:7], 0.5, v[8:9]
	v_mul_f64_e32 v[8:9], 0.5, v[25:26]
	s_delay_alu instid0(VALU_DEP_4) | instskip(SKIP_1) | instid1(VALU_DEP_3)
	v_mul_f64_e32 v[2:3], 0.5, v[2:3]
	s_wait_loadcnt 0x1
	v_mul_f64_e32 v[4:5], v[6:7], v[19:20]
	s_delay_alu instid0(VALU_DEP_2) | instskip(SKIP_1) | instid1(VALU_DEP_3)
	v_fma_f64 v[25:26], v[8:9], v[19:20], v[2:3]
	v_fma_f64 v[19:20], v[8:9], v[19:20], -v[2:3]
	v_fma_f64 v[27:28], v[0:1], 0.5, v[4:5]
	v_fma_f64 v[4:5], v[0:1], 0.5, -v[4:5]
	s_delay_alu instid0(VALU_DEP_4) | instskip(NEXT) | instid1(VALU_DEP_4)
	v_fma_f64 v[2:3], -v[17:18], v[6:7], v[25:26]
	v_fma_f64 v[6:7], -v[17:18], v[6:7], v[19:20]
	s_delay_alu instid0(VALU_DEP_4) | instskip(NEXT) | instid1(VALU_DEP_4)
	v_fma_f64 v[0:1], v[8:9], v[17:18], v[27:28]
	v_fma_f64 v[4:5], -v[8:9], v[17:18], v[4:5]
	v_lshlrev_b64_e32 v[8:9], 4, v[125:126]
	v_mov_b32_e32 v125, v115
	s_delay_alu instid0(VALU_DEP_2) | instskip(SKIP_1) | instid1(VALU_DEP_3)
	v_add_co_u32 v8, s0, s4, v8
	s_wait_alu 0xf1ff
	v_add_co_ci_u32_e64 v9, s0, s5, v9, s0
	global_load_b128 v[17:20], v[8:9], off offset:24160
	ds_store_b128 v140, v[0:3]
	ds_store_b128 v10, v[4:7] offset:22176
	ds_load_b128 v[0:3], v139
	ds_load_b128 v[4:7], v10 offset:21168
	s_wait_dscnt 0x0
	v_add_f64_e64 v[8:9], v[0:1], -v[4:5]
	v_add_f64_e32 v[25:26], v[2:3], v[6:7]
	v_add_f64_e64 v[2:3], v[2:3], -v[6:7]
	v_add_f64_e32 v[0:1], v[0:1], v[4:5]
	s_delay_alu instid0(VALU_DEP_4) | instskip(NEXT) | instid1(VALU_DEP_4)
	v_mul_f64_e32 v[6:7], 0.5, v[8:9]
	v_mul_f64_e32 v[8:9], 0.5, v[25:26]
	s_delay_alu instid0(VALU_DEP_4) | instskip(SKIP_1) | instid1(VALU_DEP_3)
	v_mul_f64_e32 v[2:3], 0.5, v[2:3]
	s_wait_loadcnt 0x1
	v_mul_f64_e32 v[4:5], v[6:7], v[23:24]
	s_delay_alu instid0(VALU_DEP_2) | instskip(SKIP_1) | instid1(VALU_DEP_3)
	v_fma_f64 v[25:26], v[8:9], v[23:24], v[2:3]
	v_fma_f64 v[23:24], v[8:9], v[23:24], -v[2:3]
	v_fma_f64 v[27:28], v[0:1], 0.5, v[4:5]
	v_fma_f64 v[4:5], v[0:1], 0.5, -v[4:5]
	s_delay_alu instid0(VALU_DEP_4) | instskip(NEXT) | instid1(VALU_DEP_4)
	v_fma_f64 v[2:3], -v[21:22], v[6:7], v[25:26]
	v_fma_f64 v[6:7], -v[21:22], v[6:7], v[23:24]
	s_delay_alu instid0(VALU_DEP_4) | instskip(NEXT) | instid1(VALU_DEP_4)
	v_fma_f64 v[0:1], v[8:9], v[21:22], v[27:28]
	v_fma_f64 v[4:5], -v[8:9], v[21:22], v[4:5]
	v_lshlrev_b64_e32 v[8:9], 4, v[124:125]
	v_mov_b32_e32 v124, v115
	s_delay_alu instid0(VALU_DEP_2) | instskip(SKIP_1) | instid1(VALU_DEP_3)
	v_add_co_u32 v8, s0, s4, v8
	s_wait_alu 0xf1ff
	v_add_co_ci_u32_e64 v9, s0, s5, v9, s0
	;; [unrolled: 34-line block ×4, first 2 shown]
	global_load_b128 v[21:24], v[8:9], off offset:24160
	ds_store_b128 v137, v[0:3]
	ds_store_b128 v10, v[4:7] offset:19152
	ds_load_b128 v[0:3], v29
	ds_load_b128 v[4:7], v10 offset:18144
	s_wait_dscnt 0x0
	v_add_f64_e64 v[8:9], v[0:1], -v[4:5]
	v_add_f64_e32 v[25:26], v[2:3], v[6:7]
	v_add_f64_e64 v[2:3], v[2:3], -v[6:7]
	v_add_f64_e32 v[0:1], v[0:1], v[4:5]
	s_delay_alu instid0(VALU_DEP_4) | instskip(NEXT) | instid1(VALU_DEP_4)
	v_mul_f64_e32 v[6:7], 0.5, v[8:9]
	v_mul_f64_e32 v[8:9], 0.5, v[25:26]
	s_delay_alu instid0(VALU_DEP_4) | instskip(SKIP_1) | instid1(VALU_DEP_3)
	v_mul_f64_e32 v[2:3], 0.5, v[2:3]
	s_wait_loadcnt 0x1
	v_mul_f64_e32 v[4:5], v[6:7], v[19:20]
	s_delay_alu instid0(VALU_DEP_2) | instskip(SKIP_1) | instid1(VALU_DEP_3)
	v_fma_f64 v[25:26], v[8:9], v[19:20], v[2:3]
	v_fma_f64 v[19:20], v[8:9], v[19:20], -v[2:3]
	v_fma_f64 v[27:28], v[0:1], 0.5, v[4:5]
	v_fma_f64 v[4:5], v[0:1], 0.5, -v[4:5]
	s_delay_alu instid0(VALU_DEP_4) | instskip(NEXT) | instid1(VALU_DEP_4)
	v_fma_f64 v[2:3], -v[17:18], v[6:7], v[25:26]
	v_fma_f64 v[6:7], -v[17:18], v[6:7], v[19:20]
	s_delay_alu instid0(VALU_DEP_4) | instskip(NEXT) | instid1(VALU_DEP_4)
	v_fma_f64 v[0:1], v[8:9], v[17:18], v[27:28]
	v_fma_f64 v[4:5], -v[8:9], v[17:18], v[4:5]
	v_lshlrev_b64_e32 v[8:9], 4, v[121:122]
	s_delay_alu instid0(VALU_DEP_1) | instskip(SKIP_1) | instid1(VALU_DEP_2)
	v_add_co_u32 v8, s0, s4, v8
	s_wait_alu 0xf1ff
	v_add_co_ci_u32_e64 v9, s0, s5, v9, s0
	global_load_b128 v[16:19], v[8:9], off offset:24160
	ds_store_b128 v29, v[0:3]
	ds_store_b128 v10, v[4:7] offset:18144
	ds_load_b128 v[0:3], v15
	ds_load_b128 v[4:7], v10 offset:17136
	s_wait_dscnt 0x0
	v_add_f64_e64 v[8:9], v[0:1], -v[4:5]
	v_add_f64_e32 v[25:26], v[2:3], v[6:7]
	v_add_f64_e64 v[2:3], v[2:3], -v[6:7]
	v_add_f64_e32 v[0:1], v[0:1], v[4:5]
	s_delay_alu instid0(VALU_DEP_4) | instskip(NEXT) | instid1(VALU_DEP_4)
	v_mul_f64_e32 v[6:7], 0.5, v[8:9]
	v_mul_f64_e32 v[8:9], 0.5, v[25:26]
	s_delay_alu instid0(VALU_DEP_4) | instskip(SKIP_1) | instid1(VALU_DEP_3)
	v_mul_f64_e32 v[2:3], 0.5, v[2:3]
	s_wait_loadcnt 0x1
	v_mul_f64_e32 v[4:5], v[6:7], v[23:24]
	s_delay_alu instid0(VALU_DEP_2) | instskip(SKIP_1) | instid1(VALU_DEP_3)
	v_fma_f64 v[25:26], v[8:9], v[23:24], v[2:3]
	v_fma_f64 v[23:24], v[8:9], v[23:24], -v[2:3]
	v_fma_f64 v[27:28], v[0:1], 0.5, v[4:5]
	v_fma_f64 v[4:5], v[0:1], 0.5, -v[4:5]
	s_delay_alu instid0(VALU_DEP_4) | instskip(NEXT) | instid1(VALU_DEP_4)
	v_fma_f64 v[2:3], -v[21:22], v[6:7], v[25:26]
	v_fma_f64 v[6:7], -v[21:22], v[6:7], v[23:24]
	v_dual_mov_b32 v121, v115 :: v_dual_add_nc_u32 v26, v134, v14
	v_fma_f64 v[0:1], v[8:9], v[21:22], v[27:28]
	v_fma_f64 v[4:5], -v[8:9], v[21:22], v[4:5]
	s_delay_alu instid0(VALU_DEP_3) | instskip(SKIP_1) | instid1(VALU_DEP_2)
	v_lshlrev_b64_e32 v[8:9], 4, v[120:121]
	v_mov_b32_e32 v120, v115
	v_add_co_u32 v8, s0, s4, v8
	s_wait_alu 0xf1ff
	s_delay_alu instid0(VALU_DEP_3)
	v_add_co_ci_u32_e64 v9, s0, s5, v9, s0
	global_load_b128 v[20:23], v[8:9], off offset:24160
	ds_store_b128 v15, v[0:3]
	ds_store_b128 v10, v[4:7] offset:17136
	ds_load_b128 v[0:3], v26
	ds_load_b128 v[4:7], v10 offset:16128
	s_wait_dscnt 0x0
	v_add_f64_e64 v[8:9], v[0:1], -v[4:5]
	v_add_f64_e32 v[14:15], v[2:3], v[6:7]
	v_add_f64_e64 v[2:3], v[2:3], -v[6:7]
	v_add_f64_e32 v[0:1], v[0:1], v[4:5]
	s_delay_alu instid0(VALU_DEP_4) | instskip(NEXT) | instid1(VALU_DEP_4)
	v_mul_f64_e32 v[6:7], 0.5, v[8:9]
	v_mul_f64_e32 v[8:9], 0.5, v[14:15]
	s_delay_alu instid0(VALU_DEP_4) | instskip(SKIP_1) | instid1(VALU_DEP_3)
	v_mul_f64_e32 v[2:3], 0.5, v[2:3]
	s_wait_loadcnt 0x1
	v_mul_f64_e32 v[4:5], v[6:7], v[18:19]
	s_delay_alu instid0(VALU_DEP_2) | instskip(SKIP_1) | instid1(VALU_DEP_3)
	v_fma_f64 v[14:15], v[8:9], v[18:19], v[2:3]
	v_fma_f64 v[18:19], v[8:9], v[18:19], -v[2:3]
	v_fma_f64 v[24:25], v[0:1], 0.5, v[4:5]
	v_fma_f64 v[4:5], v[0:1], 0.5, -v[4:5]
	s_delay_alu instid0(VALU_DEP_4) | instskip(NEXT) | instid1(VALU_DEP_4)
	v_fma_f64 v[2:3], -v[16:17], v[6:7], v[14:15]
	v_fma_f64 v[6:7], -v[16:17], v[6:7], v[18:19]
	s_delay_alu instid0(VALU_DEP_4) | instskip(NEXT) | instid1(VALU_DEP_4)
	v_fma_f64 v[0:1], v[8:9], v[16:17], v[24:25]
	v_fma_f64 v[4:5], -v[8:9], v[16:17], v[4:5]
	v_lshlrev_b64_e32 v[8:9], 4, v[119:120]
	v_mov_b32_e32 v119, v115
	s_delay_alu instid0(VALU_DEP_2) | instskip(SKIP_1) | instid1(VALU_DEP_3)
	v_add_co_u32 v8, s0, s4, v8
	s_wait_alu 0xf1ff
	v_add_co_ci_u32_e64 v9, s0, s5, v9, s0
	global_load_b128 v[14:17], v[8:9], off offset:24160
	ds_store_b128 v26, v[0:3]
	ds_store_b128 v10, v[4:7] offset:16128
	ds_load_b128 v[0:3], v13
	ds_load_b128 v[4:7], v10 offset:15120
	s_wait_dscnt 0x0
	v_add_f64_e64 v[8:9], v[0:1], -v[4:5]
	v_add_f64_e32 v[18:19], v[2:3], v[6:7]
	v_add_f64_e64 v[2:3], v[2:3], -v[6:7]
	v_add_f64_e32 v[0:1], v[0:1], v[4:5]
	s_delay_alu instid0(VALU_DEP_4) | instskip(NEXT) | instid1(VALU_DEP_4)
	v_mul_f64_e32 v[6:7], 0.5, v[8:9]
	v_mul_f64_e32 v[8:9], 0.5, v[18:19]
	s_delay_alu instid0(VALU_DEP_4) | instskip(SKIP_1) | instid1(VALU_DEP_3)
	v_mul_f64_e32 v[2:3], 0.5, v[2:3]
	s_wait_loadcnt 0x1
	v_mul_f64_e32 v[4:5], v[6:7], v[22:23]
	s_delay_alu instid0(VALU_DEP_2) | instskip(SKIP_1) | instid1(VALU_DEP_3)
	v_fma_f64 v[18:19], v[8:9], v[22:23], v[2:3]
	v_fma_f64 v[22:23], v[8:9], v[22:23], -v[2:3]
	v_fma_f64 v[24:25], v[0:1], 0.5, v[4:5]
	v_fma_f64 v[4:5], v[0:1], 0.5, -v[4:5]
	s_delay_alu instid0(VALU_DEP_4) | instskip(NEXT) | instid1(VALU_DEP_4)
	v_fma_f64 v[2:3], -v[20:21], v[6:7], v[18:19]
	v_fma_f64 v[6:7], -v[20:21], v[6:7], v[22:23]
	s_delay_alu instid0(VALU_DEP_4) | instskip(SKIP_3) | instid1(VALU_DEP_1)
	v_fma_f64 v[0:1], v[8:9], v[20:21], v[24:25]
	v_add_nc_u32_e32 v24, v132, v12
	v_fma_f64 v[4:5], -v[8:9], v[20:21], v[4:5]
	v_lshlrev_b64_e32 v[8:9], 4, v[118:119]
	v_add_co_u32 v8, s0, s4, v8
	s_wait_alu 0xf1ff
	s_delay_alu instid0(VALU_DEP_2)
	v_add_co_ci_u32_e64 v9, s0, s5, v9, s0
	global_load_b128 v[18:21], v[8:9], off offset:24160
	ds_store_b128 v13, v[0:3]
	ds_store_b128 v10, v[4:7] offset:15120
	ds_load_b128 v[0:3], v24
	ds_load_b128 v[4:7], v10 offset:14112
	s_wait_dscnt 0x0
	v_add_f64_e64 v[8:9], v[0:1], -v[4:5]
	v_add_f64_e32 v[12:13], v[2:3], v[6:7]
	v_add_f64_e64 v[2:3], v[2:3], -v[6:7]
	v_add_f64_e32 v[0:1], v[0:1], v[4:5]
	s_delay_alu instid0(VALU_DEP_4) | instskip(NEXT) | instid1(VALU_DEP_4)
	v_mul_f64_e32 v[6:7], 0.5, v[8:9]
	v_mul_f64_e32 v[8:9], 0.5, v[12:13]
	s_delay_alu instid0(VALU_DEP_4) | instskip(SKIP_1) | instid1(VALU_DEP_3)
	v_mul_f64_e32 v[2:3], 0.5, v[2:3]
	s_wait_loadcnt 0x1
	v_mul_f64_e32 v[4:5], v[6:7], v[16:17]
	s_delay_alu instid0(VALU_DEP_2) | instskip(SKIP_1) | instid1(VALU_DEP_3)
	v_fma_f64 v[12:13], v[8:9], v[16:17], v[2:3]
	v_fma_f64 v[16:17], v[8:9], v[16:17], -v[2:3]
	v_fma_f64 v[22:23], v[0:1], 0.5, v[4:5]
	v_fma_f64 v[4:5], v[0:1], 0.5, -v[4:5]
	s_delay_alu instid0(VALU_DEP_4) | instskip(NEXT) | instid1(VALU_DEP_4)
	v_fma_f64 v[2:3], -v[14:15], v[6:7], v[12:13]
	v_fma_f64 v[6:7], -v[14:15], v[6:7], v[16:17]
	v_add_nc_u32_e32 v17, v131, v11
	v_fma_f64 v[0:1], v[8:9], v[14:15], v[22:23]
	v_fma_f64 v[4:5], -v[8:9], v[14:15], v[4:5]
	ds_store_b128 v24, v[0:3]
	ds_store_b128 v10, v[4:7] offset:14112
	ds_load_b128 v[0:3], v17
	ds_load_b128 v[4:7], v10 offset:13104
	s_wait_dscnt 0x0
	v_add_f64_e64 v[8:9], v[0:1], -v[4:5]
	v_add_f64_e32 v[11:12], v[2:3], v[6:7]
	v_add_f64_e64 v[2:3], v[2:3], -v[6:7]
	v_add_f64_e32 v[0:1], v[0:1], v[4:5]
	s_delay_alu instid0(VALU_DEP_4) | instskip(NEXT) | instid1(VALU_DEP_4)
	v_mul_f64_e32 v[6:7], 0.5, v[8:9]
	v_mul_f64_e32 v[8:9], 0.5, v[11:12]
	s_delay_alu instid0(VALU_DEP_4) | instskip(SKIP_1) | instid1(VALU_DEP_3)
	v_mul_f64_e32 v[2:3], 0.5, v[2:3]
	s_wait_loadcnt 0x0
	v_mul_f64_e32 v[4:5], v[6:7], v[20:21]
	s_delay_alu instid0(VALU_DEP_2) | instskip(SKIP_1) | instid1(VALU_DEP_3)
	v_fma_f64 v[11:12], v[8:9], v[20:21], v[2:3]
	v_fma_f64 v[13:14], v[8:9], v[20:21], -v[2:3]
	v_fma_f64 v[15:16], v[0:1], 0.5, v[4:5]
	v_fma_f64 v[4:5], v[0:1], 0.5, -v[4:5]
	s_delay_alu instid0(VALU_DEP_4) | instskip(NEXT) | instid1(VALU_DEP_4)
	v_fma_f64 v[2:3], -v[18:19], v[6:7], v[11:12]
	v_fma_f64 v[6:7], -v[18:19], v[6:7], v[13:14]
	s_delay_alu instid0(VALU_DEP_4) | instskip(NEXT) | instid1(VALU_DEP_4)
	v_fma_f64 v[0:1], v[8:9], v[18:19], v[15:16]
	v_fma_f64 v[4:5], -v[8:9], v[18:19], v[4:5]
	ds_store_b128 v17, v[0:3]
	ds_store_b128 v10, v[4:7] offset:13104
	global_wb scope:SCOPE_SE
	s_wait_dscnt 0x0
	s_barrier_signal -1
	s_barrier_wait -1
	global_inv scope:SCOPE_SE
	s_and_saveexec_b32 s0, vcc_lo
	s_cbranch_execz .LBB0_24
; %bb.22:
	ds_load_b128 v[2:5], v130
	ds_load_b128 v[6:9], v130 offset:1008
	ds_load_b128 v[10:13], v130 offset:2016
	;; [unrolled: 1-line block ×3, first 2 shown]
	v_mov_b32_e32 v113, v115
	v_add_co_u32 v0, vcc_lo, s8, v116
	s_wait_alu 0xfffd
	v_add_co_ci_u32_e32 v1, vcc_lo, s9, v117, vcc_lo
	s_delay_alu instid0(VALU_DEP_3) | instskip(NEXT) | instid1(VALU_DEP_1)
	v_lshlrev_b64_e32 v[18:19], 4, v[112:113]
	v_add_co_u32 v82, vcc_lo, v0, v18
	s_wait_alu 0xfffd
	s_delay_alu instid0(VALU_DEP_2)
	v_add_co_ci_u32_e32 v83, vcc_lo, v1, v19, vcc_lo
	ds_load_b128 v[18:21], v130 offset:4032
	ds_load_b128 v[22:25], v130 offset:5040
	v_cmp_eq_u32_e32 vcc_lo, 62, v112
	s_wait_dscnt 0x5
	global_store_b128 v[82:83], v[2:5], off
	s_wait_dscnt 0x4
	global_store_b128 v[82:83], v[6:9], off offset:1008
	s_wait_dscnt 0x3
	global_store_b128 v[82:83], v[10:13], off offset:2016
	;; [unrolled: 2-line block ×3, first 2 shown]
	ds_load_b128 v[2:5], v130 offset:6048
	ds_load_b128 v[6:9], v130 offset:7056
	;; [unrolled: 1-line block ×18, first 2 shown]
	s_wait_dscnt 0x13
	global_store_b128 v[82:83], v[18:21], off offset:4032
	s_wait_dscnt 0x12
	global_store_b128 v[82:83], v[22:25], off offset:5040
	;; [unrolled: 2-line block ×20, first 2 shown]
	s_and_b32 exec_lo, exec_lo, vcc_lo
	s_cbranch_execz .LBB0_24
; %bb.23:
	v_mov_b32_e32 v2, 0
	ds_load_b128 v[2:5], v2 offset:24192
	s_wait_dscnt 0x0
	global_store_b128 v[0:1], v[2:5], off offset:24192
.LBB0_24:
	s_nop 0
	s_sendmsg sendmsg(MSG_DEALLOC_VGPRS)
	s_endpgm
	.section	.rodata,"a",@progbits
	.p2align	6, 0x0
	.amdhsa_kernel fft_rtc_back_len1512_factors_2_2_2_3_3_3_7_wgs_63_tpt_63_halfLds_dp_ip_CI_unitstride_sbrr_R2C_dirReg
		.amdhsa_group_segment_fixed_size 0
		.amdhsa_private_segment_fixed_size 0
		.amdhsa_kernarg_size 88
		.amdhsa_user_sgpr_count 2
		.amdhsa_user_sgpr_dispatch_ptr 0
		.amdhsa_user_sgpr_queue_ptr 0
		.amdhsa_user_sgpr_kernarg_segment_ptr 1
		.amdhsa_user_sgpr_dispatch_id 0
		.amdhsa_user_sgpr_private_segment_size 0
		.amdhsa_wavefront_size32 1
		.amdhsa_uses_dynamic_stack 0
		.amdhsa_enable_private_segment 0
		.amdhsa_system_sgpr_workgroup_id_x 1
		.amdhsa_system_sgpr_workgroup_id_y 0
		.amdhsa_system_sgpr_workgroup_id_z 0
		.amdhsa_system_sgpr_workgroup_info 0
		.amdhsa_system_vgpr_workitem_id 0
		.amdhsa_next_free_vgpr 249
		.amdhsa_next_free_sgpr 32
		.amdhsa_reserve_vcc 1
		.amdhsa_float_round_mode_32 0
		.amdhsa_float_round_mode_16_64 0
		.amdhsa_float_denorm_mode_32 3
		.amdhsa_float_denorm_mode_16_64 3
		.amdhsa_fp16_overflow 0
		.amdhsa_workgroup_processor_mode 1
		.amdhsa_memory_ordered 1
		.amdhsa_forward_progress 0
		.amdhsa_round_robin_scheduling 0
		.amdhsa_exception_fp_ieee_invalid_op 0
		.amdhsa_exception_fp_denorm_src 0
		.amdhsa_exception_fp_ieee_div_zero 0
		.amdhsa_exception_fp_ieee_overflow 0
		.amdhsa_exception_fp_ieee_underflow 0
		.amdhsa_exception_fp_ieee_inexact 0
		.amdhsa_exception_int_div_zero 0
	.end_amdhsa_kernel
	.text
.Lfunc_end0:
	.size	fft_rtc_back_len1512_factors_2_2_2_3_3_3_7_wgs_63_tpt_63_halfLds_dp_ip_CI_unitstride_sbrr_R2C_dirReg, .Lfunc_end0-fft_rtc_back_len1512_factors_2_2_2_3_3_3_7_wgs_63_tpt_63_halfLds_dp_ip_CI_unitstride_sbrr_R2C_dirReg
                                        ; -- End function
	.section	.AMDGPU.csdata,"",@progbits
; Kernel info:
; codeLenInByte = 20512
; NumSgprs: 34
; NumVgprs: 249
; ScratchSize: 0
; MemoryBound: 0
; FloatMode: 240
; IeeeMode: 1
; LDSByteSize: 0 bytes/workgroup (compile time only)
; SGPRBlocks: 4
; VGPRBlocks: 31
; NumSGPRsForWavesPerEU: 34
; NumVGPRsForWavesPerEU: 249
; Occupancy: 5
; WaveLimiterHint : 1
; COMPUTE_PGM_RSRC2:SCRATCH_EN: 0
; COMPUTE_PGM_RSRC2:USER_SGPR: 2
; COMPUTE_PGM_RSRC2:TRAP_HANDLER: 0
; COMPUTE_PGM_RSRC2:TGID_X_EN: 1
; COMPUTE_PGM_RSRC2:TGID_Y_EN: 0
; COMPUTE_PGM_RSRC2:TGID_Z_EN: 0
; COMPUTE_PGM_RSRC2:TIDIG_COMP_CNT: 0
	.text
	.p2alignl 7, 3214868480
	.fill 96, 4, 3214868480
	.type	__hip_cuid_328f6478258b96cc,@object ; @__hip_cuid_328f6478258b96cc
	.section	.bss,"aw",@nobits
	.globl	__hip_cuid_328f6478258b96cc
__hip_cuid_328f6478258b96cc:
	.byte	0                               ; 0x0
	.size	__hip_cuid_328f6478258b96cc, 1

	.ident	"AMD clang version 19.0.0git (https://github.com/RadeonOpenCompute/llvm-project roc-6.4.0 25133 c7fe45cf4b819c5991fe208aaa96edf142730f1d)"
	.section	".note.GNU-stack","",@progbits
	.addrsig
	.addrsig_sym __hip_cuid_328f6478258b96cc
	.amdgpu_metadata
---
amdhsa.kernels:
  - .args:
      - .actual_access:  read_only
        .address_space:  global
        .offset:         0
        .size:           8
        .value_kind:     global_buffer
      - .offset:         8
        .size:           8
        .value_kind:     by_value
      - .actual_access:  read_only
        .address_space:  global
        .offset:         16
        .size:           8
        .value_kind:     global_buffer
      - .actual_access:  read_only
        .address_space:  global
        .offset:         24
        .size:           8
        .value_kind:     global_buffer
      - .offset:         32
        .size:           8
        .value_kind:     by_value
      - .actual_access:  read_only
        .address_space:  global
        .offset:         40
        .size:           8
        .value_kind:     global_buffer
      - .actual_access:  read_only
        .address_space:  global
        .offset:         48
        .size:           8
        .value_kind:     global_buffer
      - .offset:         56
        .size:           4
        .value_kind:     by_value
      - .actual_access:  read_only
        .address_space:  global
        .offset:         64
        .size:           8
        .value_kind:     global_buffer
      - .actual_access:  read_only
        .address_space:  global
        .offset:         72
        .size:           8
        .value_kind:     global_buffer
      - .address_space:  global
        .offset:         80
        .size:           8
        .value_kind:     global_buffer
    .group_segment_fixed_size: 0
    .kernarg_segment_align: 8
    .kernarg_segment_size: 88
    .language:       OpenCL C
    .language_version:
      - 2
      - 0
    .max_flat_workgroup_size: 63
    .name:           fft_rtc_back_len1512_factors_2_2_2_3_3_3_7_wgs_63_tpt_63_halfLds_dp_ip_CI_unitstride_sbrr_R2C_dirReg
    .private_segment_fixed_size: 0
    .sgpr_count:     34
    .sgpr_spill_count: 0
    .symbol:         fft_rtc_back_len1512_factors_2_2_2_3_3_3_7_wgs_63_tpt_63_halfLds_dp_ip_CI_unitstride_sbrr_R2C_dirReg.kd
    .uniform_work_group_size: 1
    .uses_dynamic_stack: false
    .vgpr_count:     249
    .vgpr_spill_count: 0
    .wavefront_size: 32
    .workgroup_processor_mode: 1
amdhsa.target:   amdgcn-amd-amdhsa--gfx1201
amdhsa.version:
  - 1
  - 2
...

	.end_amdgpu_metadata
